;; amdgpu-corpus repo=ROCm/rocFFT kind=compiled arch=gfx1030 opt=O3
	.text
	.amdgcn_target "amdgcn-amd-amdhsa--gfx1030"
	.amdhsa_code_object_version 6
	.protected	fft_rtc_back_len2002_factors_2_13_7_11_wgs_182_tpt_182_halfLds_half_op_CI_CI_unitstride_sbrr_R2C_dirReg ; -- Begin function fft_rtc_back_len2002_factors_2_13_7_11_wgs_182_tpt_182_halfLds_half_op_CI_CI_unitstride_sbrr_R2C_dirReg
	.globl	fft_rtc_back_len2002_factors_2_13_7_11_wgs_182_tpt_182_halfLds_half_op_CI_CI_unitstride_sbrr_R2C_dirReg
	.p2align	8
	.type	fft_rtc_back_len2002_factors_2_13_7_11_wgs_182_tpt_182_halfLds_half_op_CI_CI_unitstride_sbrr_R2C_dirReg,@function
fft_rtc_back_len2002_factors_2_13_7_11_wgs_182_tpt_182_halfLds_half_op_CI_CI_unitstride_sbrr_R2C_dirReg: ; @fft_rtc_back_len2002_factors_2_13_7_11_wgs_182_tpt_182_halfLds_half_op_CI_CI_unitstride_sbrr_R2C_dirReg
; %bb.0:
	s_clause 0x2
	s_load_dwordx4 s[12:15], s[4:5], 0x0
	s_load_dwordx4 s[8:11], s[4:5], 0x58
	;; [unrolled: 1-line block ×3, first 2 shown]
	v_mul_u32_u24_e32 v1, 0x169, v0
	v_mov_b32_e32 v3, 0
	v_mov_b32_e32 v13, 0
	;; [unrolled: 1-line block ×3, first 2 shown]
	v_add_nc_u32_sdwa v7, s6, v1 dst_sel:DWORD dst_unused:UNUSED_PAD src0_sel:DWORD src1_sel:WORD_1
	v_mov_b32_e32 v8, v3
	s_waitcnt lgkmcnt(0)
	v_cmp_lt_u64_e64 s0, s[14:15], 2
	s_and_b32 vcc_lo, exec_lo, s0
	s_cbranch_vccnz .LBB0_8
; %bb.1:
	s_load_dwordx2 s[0:1], s[4:5], 0x10
	v_mov_b32_e32 v13, 0
	v_mov_b32_e32 v14, 0
	s_add_u32 s2, s18, 8
	s_addc_u32 s3, s19, 0
	v_mov_b32_e32 v1, v13
	s_add_u32 s6, s16, 8
	v_mov_b32_e32 v2, v14
	s_addc_u32 s7, s17, 0
	s_mov_b64 s[22:23], 1
	s_waitcnt lgkmcnt(0)
	s_add_u32 s20, s0, 8
	s_addc_u32 s21, s1, 0
.LBB0_2:                                ; =>This Inner Loop Header: Depth=1
	s_load_dwordx2 s[24:25], s[20:21], 0x0
                                        ; implicit-def: $vgpr5_vgpr6
	s_mov_b32 s0, exec_lo
	s_waitcnt lgkmcnt(0)
	v_or_b32_e32 v4, s25, v8
	v_cmpx_ne_u64_e32 0, v[3:4]
	s_xor_b32 s1, exec_lo, s0
	s_cbranch_execz .LBB0_4
; %bb.3:                                ;   in Loop: Header=BB0_2 Depth=1
	v_cvt_f32_u32_e32 v4, s24
	v_cvt_f32_u32_e32 v5, s25
	s_sub_u32 s0, 0, s24
	s_subb_u32 s26, 0, s25
	v_fmac_f32_e32 v4, 0x4f800000, v5
	v_rcp_f32_e32 v4, v4
	v_mul_f32_e32 v4, 0x5f7ffffc, v4
	v_mul_f32_e32 v5, 0x2f800000, v4
	v_trunc_f32_e32 v5, v5
	v_fmac_f32_e32 v4, 0xcf800000, v5
	v_cvt_u32_f32_e32 v5, v5
	v_cvt_u32_f32_e32 v4, v4
	v_mul_lo_u32 v6, s0, v5
	v_mul_hi_u32 v9, s0, v4
	v_mul_lo_u32 v10, s26, v4
	v_add_nc_u32_e32 v6, v9, v6
	v_mul_lo_u32 v9, s0, v4
	v_add_nc_u32_e32 v6, v6, v10
	v_mul_hi_u32 v10, v4, v9
	v_mul_lo_u32 v11, v4, v6
	v_mul_hi_u32 v12, v4, v6
	v_mul_hi_u32 v15, v5, v9
	v_mul_lo_u32 v9, v5, v9
	v_mul_hi_u32 v16, v5, v6
	v_mul_lo_u32 v6, v5, v6
	v_add_co_u32 v10, vcc_lo, v10, v11
	v_add_co_ci_u32_e32 v11, vcc_lo, 0, v12, vcc_lo
	v_add_co_u32 v9, vcc_lo, v10, v9
	v_add_co_ci_u32_e32 v9, vcc_lo, v11, v15, vcc_lo
	v_add_co_ci_u32_e32 v10, vcc_lo, 0, v16, vcc_lo
	v_add_co_u32 v6, vcc_lo, v9, v6
	v_add_co_ci_u32_e32 v9, vcc_lo, 0, v10, vcc_lo
	v_add_co_u32 v4, vcc_lo, v4, v6
	v_add_co_ci_u32_e32 v5, vcc_lo, v5, v9, vcc_lo
	v_mul_hi_u32 v6, s0, v4
	v_mul_lo_u32 v10, s26, v4
	v_mul_lo_u32 v9, s0, v5
	v_add_nc_u32_e32 v6, v6, v9
	v_mul_lo_u32 v9, s0, v4
	v_add_nc_u32_e32 v6, v6, v10
	v_mul_hi_u32 v10, v4, v9
	v_mul_lo_u32 v11, v4, v6
	v_mul_hi_u32 v12, v4, v6
	v_mul_hi_u32 v15, v5, v9
	v_mul_lo_u32 v9, v5, v9
	v_mul_hi_u32 v16, v5, v6
	v_mul_lo_u32 v6, v5, v6
	v_add_co_u32 v10, vcc_lo, v10, v11
	v_add_co_ci_u32_e32 v11, vcc_lo, 0, v12, vcc_lo
	v_add_co_u32 v9, vcc_lo, v10, v9
	v_add_co_ci_u32_e32 v9, vcc_lo, v11, v15, vcc_lo
	v_add_co_ci_u32_e32 v10, vcc_lo, 0, v16, vcc_lo
	v_add_co_u32 v6, vcc_lo, v9, v6
	v_add_co_ci_u32_e32 v9, vcc_lo, 0, v10, vcc_lo
	v_add_co_u32 v6, vcc_lo, v4, v6
	v_add_co_ci_u32_e32 v11, vcc_lo, v5, v9, vcc_lo
	v_mul_hi_u32 v15, v7, v6
	v_mad_u64_u32 v[9:10], null, v8, v6, 0
	v_mad_u64_u32 v[4:5], null, v7, v11, 0
	;; [unrolled: 1-line block ×3, first 2 shown]
	v_add_co_u32 v4, vcc_lo, v15, v4
	v_add_co_ci_u32_e32 v5, vcc_lo, 0, v5, vcc_lo
	v_add_co_u32 v4, vcc_lo, v4, v9
	v_add_co_ci_u32_e32 v4, vcc_lo, v5, v10, vcc_lo
	v_add_co_ci_u32_e32 v5, vcc_lo, 0, v12, vcc_lo
	v_add_co_u32 v9, vcc_lo, v4, v11
	v_add_co_ci_u32_e32 v6, vcc_lo, 0, v5, vcc_lo
	v_mul_lo_u32 v10, s25, v9
	v_mad_u64_u32 v[4:5], null, s24, v9, 0
	v_mul_lo_u32 v11, s24, v6
	v_sub_co_u32 v4, vcc_lo, v7, v4
	v_add3_u32 v5, v5, v11, v10
	v_sub_nc_u32_e32 v10, v8, v5
	v_subrev_co_ci_u32_e64 v10, s0, s25, v10, vcc_lo
	v_add_co_u32 v11, s0, v9, 2
	v_add_co_ci_u32_e64 v12, s0, 0, v6, s0
	v_sub_co_u32 v15, s0, v4, s24
	v_sub_co_ci_u32_e32 v5, vcc_lo, v8, v5, vcc_lo
	v_subrev_co_ci_u32_e64 v10, s0, 0, v10, s0
	v_cmp_le_u32_e32 vcc_lo, s24, v15
	v_cmp_eq_u32_e64 s0, s25, v5
	v_cndmask_b32_e64 v15, 0, -1, vcc_lo
	v_cmp_le_u32_e32 vcc_lo, s25, v10
	v_cndmask_b32_e64 v16, 0, -1, vcc_lo
	v_cmp_le_u32_e32 vcc_lo, s24, v4
	;; [unrolled: 2-line block ×3, first 2 shown]
	v_cndmask_b32_e64 v17, 0, -1, vcc_lo
	v_cmp_eq_u32_e32 vcc_lo, s25, v10
	v_cndmask_b32_e64 v4, v17, v4, s0
	v_cndmask_b32_e32 v10, v16, v15, vcc_lo
	v_add_co_u32 v15, vcc_lo, v9, 1
	v_add_co_ci_u32_e32 v16, vcc_lo, 0, v6, vcc_lo
	v_cmp_ne_u32_e32 vcc_lo, 0, v10
	v_cndmask_b32_e32 v5, v16, v12, vcc_lo
	v_cndmask_b32_e32 v10, v15, v11, vcc_lo
	v_cmp_ne_u32_e32 vcc_lo, 0, v4
	v_cndmask_b32_e32 v6, v6, v5, vcc_lo
	v_cndmask_b32_e32 v5, v9, v10, vcc_lo
.LBB0_4:                                ;   in Loop: Header=BB0_2 Depth=1
	s_andn2_saveexec_b32 s0, s1
	s_cbranch_execz .LBB0_6
; %bb.5:                                ;   in Loop: Header=BB0_2 Depth=1
	v_cvt_f32_u32_e32 v4, s24
	s_sub_i32 s1, 0, s24
	v_rcp_iflag_f32_e32 v4, v4
	v_mul_f32_e32 v4, 0x4f7ffffe, v4
	v_cvt_u32_f32_e32 v4, v4
	v_mul_lo_u32 v5, s1, v4
	v_mul_hi_u32 v5, v4, v5
	v_add_nc_u32_e32 v4, v4, v5
	v_mul_hi_u32 v4, v7, v4
	v_mul_lo_u32 v5, v4, s24
	v_add_nc_u32_e32 v6, 1, v4
	v_sub_nc_u32_e32 v5, v7, v5
	v_subrev_nc_u32_e32 v9, s24, v5
	v_cmp_le_u32_e32 vcc_lo, s24, v5
	v_cndmask_b32_e32 v5, v5, v9, vcc_lo
	v_cndmask_b32_e32 v4, v4, v6, vcc_lo
	v_cmp_le_u32_e32 vcc_lo, s24, v5
	v_add_nc_u32_e32 v6, 1, v4
	v_cndmask_b32_e32 v5, v4, v6, vcc_lo
	v_mov_b32_e32 v6, v3
.LBB0_6:                                ;   in Loop: Header=BB0_2 Depth=1
	s_or_b32 exec_lo, exec_lo, s0
	v_mul_lo_u32 v4, v6, s24
	v_mul_lo_u32 v11, v5, s25
	s_load_dwordx2 s[0:1], s[6:7], 0x0
	v_mad_u64_u32 v[9:10], null, v5, s24, 0
	s_load_dwordx2 s[24:25], s[2:3], 0x0
	s_add_u32 s22, s22, 1
	s_addc_u32 s23, s23, 0
	s_add_u32 s2, s2, 8
	s_addc_u32 s3, s3, 0
	s_add_u32 s6, s6, 8
	v_add3_u32 v4, v10, v11, v4
	v_sub_co_u32 v7, vcc_lo, v7, v9
	s_addc_u32 s7, s7, 0
	s_add_u32 s20, s20, 8
	v_sub_co_ci_u32_e32 v4, vcc_lo, v8, v4, vcc_lo
	s_addc_u32 s21, s21, 0
	s_waitcnt lgkmcnt(0)
	v_mul_lo_u32 v8, s0, v4
	v_mul_lo_u32 v9, s1, v7
	v_mad_u64_u32 v[13:14], null, s0, v7, v[13:14]
	v_mul_lo_u32 v4, s24, v4
	v_mul_lo_u32 v10, s25, v7
	v_mad_u64_u32 v[1:2], null, s24, v7, v[1:2]
	v_cmp_ge_u64_e64 s0, s[22:23], s[14:15]
	v_add3_u32 v14, v9, v14, v8
	v_add3_u32 v2, v10, v2, v4
	s_and_b32 vcc_lo, exec_lo, s0
	s_cbranch_vccnz .LBB0_9
; %bb.7:                                ;   in Loop: Header=BB0_2 Depth=1
	v_mov_b32_e32 v8, v6
	v_mov_b32_e32 v7, v5
	s_branch .LBB0_2
.LBB0_8:
	v_mov_b32_e32 v1, v13
	v_mov_b32_e32 v5, v7
	;; [unrolled: 1-line block ×4, first 2 shown]
.LBB0_9:
	s_load_dwordx2 s[0:1], s[4:5], 0x28
	v_mul_hi_u32 v4, 0x1681682, v0
	s_lshl_b64 s[4:5], s[14:15], 3
                                        ; implicit-def: $vgpr3
                                        ; implicit-def: $vgpr7
                                        ; implicit-def: $vgpr12
                                        ; implicit-def: $vgpr11
                                        ; implicit-def: $vgpr10
                                        ; implicit-def: $vgpr9
	s_add_u32 s2, s18, s4
	s_addc_u32 s3, s19, s5
	s_waitcnt lgkmcnt(0)
	v_cmp_gt_u64_e32 vcc_lo, s[0:1], v[5:6]
	v_cmp_le_u64_e64 s0, s[0:1], v[5:6]
	s_and_saveexec_b32 s1, s0
	s_xor_b32 s0, exec_lo, s1
; %bb.10:
	v_mul_u32_u24_e32 v3, 0xb6, v4
                                        ; implicit-def: $vgpr4
                                        ; implicit-def: $vgpr13_vgpr14
	v_sub_nc_u32_e32 v3, v0, v3
                                        ; implicit-def: $vgpr0
	v_add_nc_u32_e32 v7, 0xb6, v3
	v_add_nc_u32_e32 v12, 0x16c, v3
	;; [unrolled: 1-line block ×5, first 2 shown]
; %bb.11:
	s_andn2_saveexec_b32 s1, s0
	s_cbranch_execz .LBB0_13
; %bb.12:
	s_add_u32 s4, s16, s4
	s_addc_u32 s5, s17, s5
	s_load_dwordx2 s[4:5], s[4:5], 0x0
	s_waitcnt lgkmcnt(0)
	v_mul_lo_u32 v3, s5, v5
	v_mul_lo_u32 v9, s4, v6
	v_mad_u64_u32 v[7:8], null, s4, v5, 0
	v_add3_u32 v8, v8, v9, v3
	v_mul_u32_u24_e32 v3, 0xb6, v4
	v_lshlrev_b64 v[9:10], 2, v[13:14]
	v_lshlrev_b64 v[7:8], 2, v[7:8]
	v_sub_nc_u32_e32 v3, v0, v3
	v_lshlrev_b32_e32 v15, 2, v3
	v_add_co_u32 v0, s0, s8, v7
	v_add_co_ci_u32_e64 v4, s0, s9, v8, s0
	v_add_co_u32 v0, s0, v0, v9
	v_add_co_ci_u32_e64 v4, s0, v4, v10, s0
	;; [unrolled: 2-line block ×6, first 2 shown]
	s_clause 0xa
	global_load_dword v0, v[7:8], off
	global_load_dword v4, v[7:8], off offset:728
	global_load_dword v8, v[7:8], off offset:1456
	;; [unrolled: 1-line block ×10, first 2 shown]
	v_add_nc_u32_e32 v14, 0, v15
	v_add_nc_u32_e32 v7, 0xb6, v3
	;; [unrolled: 1-line block ×10, first 2 shown]
	s_waitcnt vmcnt(9)
	ds_write2_b32 v14, v0, v4 offset1:182
	s_waitcnt vmcnt(7)
	ds_write2_b32 v15, v8, v16 offset0:44 offset1:226
	s_waitcnt vmcnt(5)
	ds_write2_b32 v23, v17, v18 offset0:24 offset1:206
	;; [unrolled: 2-line block ×4, first 2 shown]
	s_waitcnt vmcnt(0)
	ds_write_b32 v14, v13 offset:7280
.LBB0_13:
	s_or_b32 exec_lo, exec_lo, s1
	v_lshlrev_b32_e32 v4, 2, v3
	s_load_dwordx2 s[2:3], s[2:3], 0x0
	s_waitcnt lgkmcnt(0)
	s_barrier
	buffer_gl0_inv
	v_add_nc_u32_e32 v0, 0, v4
	v_cmp_gt_u32_e64 s0, 0x5b, v3
	v_lshl_add_u32 v29, v12, 3, 0
	v_lshl_add_u32 v30, v11, 3, 0
	;; [unrolled: 1-line block ×3, first 2 shown]
	v_add_nc_u32_e32 v8, 0xf00, v0
	v_add_nc_u32_e32 v13, 0x1a00, v0
	;; [unrolled: 1-line block ×4, first 2 shown]
	ds_read2_b32 v[20:21], v0 offset1:182
	ds_read2_b32 v[14:15], v8 offset0:41 offset1:223
	v_add_nc_u32_e32 v8, 0xb00, v0
	v_add_nc_u32_e32 v32, v0, v4
	ds_read2_b32 v[25:26], v8 offset0:24 offset1:206
	ds_read2_b32 v[16:17], v13 offset0:65 offset1:247
	ds_read2_b32 v[27:28], v18 offset0:44 offset1:226
	ds_read2_b32 v[22:23], v19 offset0:21 offset1:203
	v_lshl_add_u32 v8, v7, 3, 0
	s_waitcnt lgkmcnt(0)
	s_barrier
	buffer_gl0_inv
	v_lshrrev_b32_e32 v13, 16, v20
	v_pk_add_f16 v14, v20, v14 neg_lo:[0,1] neg_hi:[0,1]
	v_pk_add_f16 v24, v21, v15 neg_lo:[0,1] neg_hi:[0,1]
	;; [unrolled: 1-line block ×3, first 2 shown]
	v_lshrrev_b32_e32 v34, 16, v14
	v_pk_add_f16 v16, v26, v17 neg_lo:[0,1] neg_hi:[0,1]
	v_fma_f16 v19, v20, 2.0, -v14
	v_pk_add_f16 v22, v27, v22 neg_lo:[0,1] neg_hi:[0,1]
	v_pk_add_f16 v20, v28, v23 neg_lo:[0,1] neg_hi:[0,1]
	v_fma_f16 v13, v13, 2.0, -v34
	v_pk_fma_f16 v17, v25, 2.0, v18 op_sel_hi:[1,0,1] neg_lo:[0,0,1] neg_hi:[0,0,1]
	v_pk_fma_f16 v23, v21, 2.0, v24 op_sel_hi:[1,0,1] neg_lo:[0,0,1] neg_hi:[0,0,1]
	;; [unrolled: 1-line block ×4, first 2 shown]
	v_lshlrev_b32_e32 v13, 16, v13
	v_or_b32_sdwa v13, v13, v19 dst_sel:DWORD dst_unused:UNUSED_PAD src0_sel:DWORD src1_sel:WORD_0
	v_pk_fma_f16 v19, v28, 2.0, v20 op_sel_hi:[1,0,1] neg_lo:[0,0,1] neg_hi:[0,0,1]
	ds_write2_b32 v32, v13, v14 offset1:1
	ds_write2_b32 v8, v23, v24 offset1:1
	;; [unrolled: 1-line block ×5, first 2 shown]
	s_and_saveexec_b32 s1, s0
	s_cbranch_execz .LBB0_15
; %bb.14:
	v_lshl_add_u32 v8, v9, 3, 0
	ds_write2_b32 v8, v15, v16 offset1:1
.LBB0_15:
	s_or_b32 exec_lo, exec_lo, s1
	v_cmp_gt_u32_e64 s1, 0x9a, v3
	v_lshrrev_b32_e32 v40, 16, v19
	v_lshrrev_b32_e32 v42, 16, v20
	v_lshrrev_b32_e32 v41, 16, v21
	v_lshrrev_b32_e32 v44, 16, v22
	v_lshrrev_b32_e32 v43, 16, v23
	v_lshrrev_b32_e32 v45, 16, v24
	s_waitcnt lgkmcnt(0)
	s_barrier
	buffer_gl0_inv
                                        ; implicit-def: $vgpr39
                                        ; implicit-def: $vgpr37
	s_and_saveexec_b32 s4, s1
	s_cbranch_execz .LBB0_17
; %bb.16:
	v_add_nc_u32_e32 v8, 0x400, v0
	v_add_nc_u32_e32 v16, 0xe00, v0
	;; [unrolled: 1-line block ×3, first 2 shown]
	ds_read2_b32 v[13:14], v0 offset1:154
	ds_read_b32 v37, v0 offset:7392
	ds_read2_b32 v[23:24], v8 offset0:52 offset1:206
	ds_read2_b32 v[21:22], v15 offset0:40 offset1:194
	v_add_nc_u32_e32 v8, 0x1200, v0
	ds_read2_b32 v[19:20], v16 offset0:28 offset1:182
	v_add_nc_u32_e32 v15, 0x1800, v0
	ds_read2_b32 v[17:18], v8 offset0:80 offset1:234
	ds_read2_b32 v[15:16], v15 offset0:4 offset1:158
	s_waitcnt lgkmcnt(6)
	v_lshrrev_b32_e32 v34, 16, v14
	s_waitcnt lgkmcnt(5)
	v_lshrrev_b32_e32 v39, 16, v37
	;; [unrolled: 2-line block ×3, first 2 shown]
	v_lshrrev_b32_e32 v45, 16, v24
	s_waitcnt lgkmcnt(3)
	v_lshrrev_b32_e32 v41, 16, v21
	v_lshrrev_b32_e32 v44, 16, v22
	s_waitcnt lgkmcnt(2)
	v_lshrrev_b32_e32 v40, 16, v19
	v_lshrrev_b32_e32 v42, 16, v20
.LBB0_17:
	s_or_b32 exec_lo, exec_lo, s4
	v_and_b32_e32 v8, 1, v3
	s_waitcnt lgkmcnt(0)
	v_lshrrev_b32_e32 v64, 16, v15
	v_lshrrev_b32_e32 v65, 16, v16
	;; [unrolled: 1-line block ×4, first 2 shown]
	v_mul_u32_u24_e32 v25, 12, v8
	v_lshlrev_b32_e32 v25, 2, v25
	s_clause 0x2
	global_load_dwordx4 v[50:53], v25, s[12:13]
	global_load_dwordx4 v[54:57], v25, s[12:13] offset:16
	global_load_dwordx4 v[58:61], v25, s[12:13] offset:32
	s_waitcnt vmcnt(0)
	s_barrier
	buffer_gl0_inv
	v_mul_f16_sdwa v38, v34, v50 dst_sel:DWORD dst_unused:UNUSED_PAD src0_sel:DWORD src1_sel:WORD_1
	v_mul_f16_sdwa v46, v14, v50 dst_sel:DWORD dst_unused:UNUSED_PAD src0_sel:DWORD src1_sel:WORD_1
	;; [unrolled: 1-line block ×13, first 2 shown]
	v_fma_f16 v49, v34, v50, -v46
	v_fmac_f16_e32 v38, v14, v50
	v_fma_f16 v14, v39, v61, -v75
	v_mul_f16_sdwa v36, v43, v51 dst_sel:DWORD dst_unused:UNUSED_PAD src0_sel:DWORD src1_sel:WORD_1
	v_mul_f16_sdwa v35, v45, v52 dst_sel:DWORD dst_unused:UNUSED_PAD src0_sel:DWORD src1_sel:WORD_1
	;; [unrolled: 1-line block ×11, first 2 shown]
	v_fma_f16 v48, v43, v51, -v47
	v_fma_f16 v47, v45, v52, -v66
	;; [unrolled: 1-line block ×5, first 2 shown]
	v_fmac_f16_e32 v27, v15, v59
	v_fmac_f16_e32 v26, v37, v61
	v_fma_f16 v40, v64, v59, -v73
	v_fmac_f16_e32 v25, v16, v60
	v_fma_f16 v39, v65, v60, -v74
	v_add_f16_e32 v15, v49, v14
	v_sub_f16_e32 v16, v49, v14
	v_fmac_f16_e32 v36, v23, v51
	v_fmac_f16_e32 v33, v21, v53
	v_fma_f16 v46, v41, v53, -v67
	v_fmac_f16_e32 v31, v19, v55
	v_fmac_f16_e32 v30, v20, v56
	v_fmac_f16_e32 v29, v17, v57
	v_fma_f16 v42, v62, v57, -v71
	v_fmac_f16_e32 v28, v18, v58
	v_fma_f16 v41, v63, v58, -v72
	v_add_f16_e32 v65, v38, v26
	v_sub_f16_e32 v62, v38, v26
	v_add_f16_e32 v17, v48, v39
	v_sub_f16_e32 v18, v48, v39
	v_sub_f16_e32 v19, v47, v40
	v_add_f16_e32 v20, v47, v40
	v_sub_f16_e32 v34, v44, v43
	v_mul_f16_e32 v50, 0xb770, v16
	v_mul_f16_e32 v53, 0x3b15, v15
	;; [unrolled: 1-line block ×12, first 2 shown]
	v_fmac_f16_e32 v35, v24, v52
	v_fmac_f16_e32 v32, v22, v54
	v_add_f16_e32 v56, v36, v25
	v_sub_f16_e32 v58, v36, v25
	v_sub_f16_e32 v21, v46, v41
	v_add_f16_e32 v22, v46, v41
	v_sub_f16_e32 v23, v45, v42
	v_add_f16_e32 v24, v45, v42
	v_add_f16_e32 v37, v44, v43
	v_mul_f16_e32 v51, 0xba95, v18
	v_mul_f16_e32 v54, 0x388b, v17
	;; [unrolled: 1-line block ×30, first 2 shown]
	v_fma_f16 v15, v65, 0x3b15, -v50
	v_fmamk_f16 v16, v62, 0xb770, v53
	v_fma_f16 v17, v65, 0x388b, -v70
	v_fmamk_f16 v18, v62, 0xba95, v77
	;; [unrolled: 2-line block ×6, first 2 shown]
	v_add_f16_e32 v69, v35, v27
	v_sub_f16_e32 v72, v35, v27
	v_mul_f16_e32 v55, 0xbb7b, v21
	v_mul_f16_e32 v61, 0xb5ac, v22
	;; [unrolled: 1-line block ×30, first 2 shown]
	v_fma_f16 v21, v56, 0x388b, -v51
	v_fmamk_f16 v22, v58, 0xba95, v54
	v_fma_f16 v23, v56, 0xb5ac, -v71
	v_fmamk_f16 v24, v58, 0xbb7b, v78
	;; [unrolled: 2-line block ×6, first 2 shown]
	v_add_f16_e32 v15, v15, v13
	v_add_f16_sdwa v16, v16, v13 dst_sel:DWORD dst_unused:UNUSED_PAD src0_sel:DWORD src1_sel:WORD_1
	v_add_f16_e32 v17, v17, v13
	v_add_f16_sdwa v18, v18, v13 dst_sel:DWORD dst_unused:UNUSED_PAD src0_sel:DWORD src1_sel:WORD_1
	;; [unrolled: 2-line block ×6, first 2 shown]
	v_add_f16_e32 v75, v33, v28
	v_sub_f16_e32 v76, v33, v28
	v_fma_f16 v146, v69, 0x2fb7, -v52
	v_fmamk_f16 v147, v72, 0xbbf1, v57
	v_fma_f16 v148, v69, 0xbbc4, -v74
	v_add_f16_e32 v15, v21, v15
	v_fmamk_f16 v21, v72, 0xb3a8, v82
	v_add_f16_e32 v16, v22, v16
	v_fma_f16 v22, v69, 0xb5ac, -v85
	v_add_f16_e32 v17, v23, v17
	v_fmamk_f16 v23, v72, 0x3b7b, v96
	v_add_f16_e32 v18, v24, v18
	v_fma_f16 v24, v69, 0x3b15, -v101
	v_add_f16_e32 v19, v37, v19
	v_fmamk_f16 v37, v72, 0x3770, v109
	v_add_f16_e32 v20, v134, v20
	v_fma_f16 v134, v69, 0x388b, -v113
	v_add_f16_e32 v34, v135, v34
	v_fmamk_f16 v135, v72, 0xba95, v118
	v_add_f16_e32 v136, v137, v136
	v_fma_f16 v137, v69, 0xb9fd, -v124
	v_add_f16_e32 v138, v139, v138
	v_fmamk_f16 v139, v72, 0xb94e, v130
	v_add_f16_e32 v140, v141, v140
	v_add_f16_e32 v142, v143, v142
	v_add_f16_e32 v144, v145, v144
	v_add_f16_e32 v80, v32, v29
	v_sub_f16_e32 v83, v32, v29
	v_fma_f16 v141, v75, 0xb5ac, -v55
	v_fmamk_f16 v143, v76, 0xbb7b, v61
	v_fma_f16 v145, v75, 0xb9fd, -v67
	v_add_f16_e32 v15, v146, v15
	v_fmamk_f16 v146, v76, 0x394e, v81
	v_add_f16_e32 v16, v147, v16
	v_fma_f16 v147, v75, 0x3b15, -v88
	v_add_f16_e32 v17, v148, v17
	v_fmamk_f16 v148, v76, 0x3770, v95
	v_add_f16_e32 v18, v21, v18
	v_fma_f16 v21, v75, 0x2fb7, -v98
	v_add_f16_e32 v19, v22, v19
	v_fmamk_f16 v22, v76, 0xbbf1, v105
	v_add_f16_e32 v20, v23, v20
	v_fma_f16 v23, v75, 0xbbc4, -v114
	v_add_f16_e32 v24, v24, v34
	v_fmamk_f16 v34, v76, 0x33a8, v119
	v_add_f16_e32 v37, v37, v136
	v_fma_f16 v136, v75, 0x388b, -v126
	v_add_f16_e32 v134, v134, v138
	v_fmamk_f16 v138, v76, 0x3a95, v131
	v_add_f16_e32 v135, v135, v140
	v_add_f16_e32 v137, v137, v142
	v_add_f16_e32 v139, v139, v144
	;; [unrolled: 26-line block ×3, first 2 shown]
	v_fma_f16 v135, v89, 0xbbc4, -v60
	v_fmamk_f16 v137, v91, 0xb3a8, v63
	v_fma_f16 v139, v89, 0x3b15, -v66
	v_add_f16_e32 v15, v140, v15
	v_fmamk_f16 v140, v91, 0x3770, v73
	v_add_f16_e32 v16, v142, v16
	v_fma_f16 v142, v89, 0xb9fd, -v90
	v_add_f16_e32 v17, v144, v17
	v_fmamk_f16 v144, v91, 0xb94e, v97
	v_add_f16_e32 v141, v141, v18
	;; [unrolled: 4-line block ×5, first 2 shown]
	v_add_f16_e32 v136, v37, v136
	v_add_f16_e32 v134, v134, v138
	v_add_f16_e32 v18, v135, v15
	v_add_f16_e32 v21, v137, v16
	v_add_f16_e32 v19, v139, v17
	v_add_f16_e32 v22, v140, v141
	v_add_f16_e32 v17, v142, v143
	v_add_f16_e32 v23, v144, v20
	v_add_f16_e32 v24, v149, v146
	v_add_f16_e32 v20, v150, v147
	v_add_f16_e32 v34, v145, v148
	v_add_f16_e32 v37, v151, v154
	v_add_f16_e32 v15, v152, v136
	v_add_f16_e32 v16, v153, v134
	s_and_saveexec_b32 s4, s1
	s_cbranch_execz .LBB0_19
; %bb.18:
	v_mul_f16_e32 v134, 0xb3a8, v62
	v_mul_f16_e32 v138, 0x3770, v58
	;; [unrolled: 1-line block ×5, first 2 shown]
	v_sub_f16_e32 v132, v132, v134
	v_sub_f16_e32 v129, v129, v138
	;; [unrolled: 1-line block ×4, first 2 shown]
	v_mul_f16_e32 v134, 0xba95, v62
	v_add_f16_sdwa v132, v132, v13 dst_sel:DWORD dst_unused:UNUSED_PAD src0_sel:DWORD src1_sel:WORD_1
	v_mul_f16_e32 v138, 0xbbf1, v62
	v_mul_f16_e32 v140, 0xbb7b, v62
	;; [unrolled: 1-line block ×4, first 2 shown]
	v_add_f16_e32 v129, v129, v132
	v_mul_f16_e32 v132, 0xbbc4, v65
	v_mul_f16_e32 v137, 0x388b, v65
	v_sub_f16_e32 v62, v120, v62
	v_mul_f16_e32 v120, 0xb5ac, v80
	v_add_f16_e32 v129, v130, v129
	v_add_f16_e32 v125, v132, v125
	v_mul_f16_e32 v132, 0xbb7b, v83
	v_mul_f16_e32 v130, 0x3b15, v56
	v_add_f16_sdwa v62, v62, v13 dst_sel:DWORD dst_unused:UNUSED_PAD src0_sel:DWORD src1_sel:WORD_1
	v_add_f16_e32 v129, v131, v129
	v_add_f16_e32 v125, v125, v13
	v_sub_f16_e32 v128, v128, v132
	v_add_f16_e32 v123, v130, v123
	v_mul_f16_e32 v130, 0xb9fd, v69
	v_add_f16_e32 v120, v120, v122
	v_mul_f16_e32 v122, 0xba95, v72
	v_add_f16_e32 v128, v128, v129
	v_mul_f16_e32 v129, 0x3bf1, v91
	v_add_f16_e32 v123, v123, v125
	v_add_f16_e32 v124, v130, v124
	v_mul_f16_e32 v130, 0x388b, v75
	v_sub_f16_e32 v118, v118, v122
	v_sub_f16_e32 v129, v133, v129
	v_mul_f16_e32 v133, 0x3bf1, v58
	v_add_f16_e32 v123, v124, v123
	v_add_f16_e32 v126, v130, v126
	v_mul_f16_e32 v139, 0x2fb7, v65
	v_add_f16_e32 v128, v129, v128
	v_sub_f16_e32 v117, v117, v133
	v_mul_f16_e32 v129, 0x33a8, v76
	v_mul_f16_e32 v142, 0xb5ac, v65
	v_mul_f16_e32 v65, 0xb9fd, v65
	v_add_f16_e32 v123, v126, v123
	v_add_f16_e32 v62, v117, v62
	v_sub_f16_e32 v119, v119, v129
	v_mul_f16_e32 v131, 0x388b, v56
	v_mul_f16_e32 v125, 0xb5ac, v56
	v_mul_f16_e32 v130, 0xbbc4, v56
	v_add_f16_e32 v62, v118, v62
	v_mul_f16_e32 v133, 0xb9fd, v56
	v_mul_f16_e32 v56, 0x2fb7, v56
	v_add_f16_e32 v120, v120, v123
	v_mul_f16_e32 v123, 0x2fb7, v89
	v_add_f16_e32 v65, v65, v115
	v_add_f16_e32 v62, v119, v62
	v_mul_f16_e32 v119, 0x3770, v83
	v_mul_f16_e32 v132, 0xba95, v58
	;; [unrolled: 1-line block ×7, first 2 shown]
	v_add_f16_e32 v123, v123, v127
	v_mul_f16_e32 v127, 0xb5ac, v69
	v_add_f16_e32 v56, v56, v112
	v_mul_f16_e32 v112, 0x3b15, v69
	;; [unrolled: 2-line block ×3, first 2 shown]
	v_sub_f16_e32 v116, v116, v119
	v_sub_f16_e32 v111, v111, v140
	v_mul_f16_e32 v122, 0xbbf1, v72
	v_mul_f16_e32 v129, 0xb3a8, v72
	;; [unrolled: 1-line block ×4, first 2 shown]
	v_add_f16_e32 v56, v56, v65
	v_mul_f16_e32 v65, 0xbb7b, v91
	v_add_f16_e32 v69, v69, v113
	v_add_f16_e32 v62, v116, v62
	v_mul_f16_e32 v116, 0xbbc4, v75
	v_sub_f16_e32 v58, v107, v58
	v_add_f16_sdwa v111, v111, v13 dst_sel:DWORD dst_unused:UNUSED_PAD src0_sel:DWORD src1_sel:WORD_1
	v_add_f16_e32 v70, v137, v70
	v_mul_f16_e32 v113, 0xbb7b, v76
	v_sub_f16_e32 v65, v121, v65
	v_add_f16_e32 v56, v69, v56
	v_mul_f16_e32 v69, 0x394e, v76
	v_add_f16_e32 v114, v116, v114
	v_mul_f16_e32 v140, 0x3770, v76
	v_mul_f16_e32 v76, 0xbbf1, v76
	v_add_f16_e32 v58, v58, v111
	v_sub_f16_e32 v72, v109, v72
	v_add_f16_e32 v99, v142, v99
	v_mul_f16_e32 v141, 0x3b15, v80
	v_add_f16_e32 v70, v70, v13
	v_add_f16_e32 v71, v125, v71
	v_add_f16_sdwa v49, v49, v13 dst_sel:DWORD dst_unused:UNUSED_PAD src0_sel:DWORD src1_sel:WORD_1
	v_add_f16_e32 v38, v38, v13
	v_mul_f16_e32 v121, 0xb9fd, v75
	v_add_f16_e32 v62, v65, v62
	v_mul_f16_e32 v65, 0xb94e, v83
	;; [unrolled: 2-line block ×4, first 2 shown]
	v_mul_f16_e32 v83, 0x33a8, v83
	v_add_f16_e32 v110, v141, v110
	v_add_f16_e32 v99, v99, v13
	;; [unrolled: 1-line block ×3, first 2 shown]
	v_sub_f16_e32 v76, v105, v76
	v_add_f16_e32 v70, v71, v70
	v_add_f16_e32 v71, v118, v74
	;; [unrolled: 1-line block ×4, first 2 shown]
	v_mul_f16_e32 v114, 0x2fb7, v80
	v_mul_f16_e32 v72, 0xb3a8, v91
	v_add_f16_e32 v99, v100, v99
	v_mul_f16_e32 v100, 0x3770, v91
	v_add_f16_e32 v56, v110, v56
	v_mul_f16_e32 v110, 0xb94e, v91
	v_mul_f16_e32 v91, 0x3a95, v91
	v_add_f16_e32 v58, v76, v58
	v_sub_f16_e32 v76, v104, v83
	v_add_f16_e32 v70, v71, v70
	v_add_f16_e32 v67, v121, v67
	;; [unrolled: 1-line block ×5, first 2 shown]
	v_sub_f16_e32 v76, v108, v91
	v_sub_f16_e32 v49, v53, v136
	v_add_f16_e32 v53, v67, v70
	v_add_f16_e32 v36, v114, v68
	;; [unrolled: 1-line block ×4, first 2 shown]
	v_sub_f16_e32 v93, v93, v138
	v_add_f16_e32 v58, v76, v58
	v_add_f16_e32 v76, v139, v84
	v_sub_f16_e32 v77, v77, v134
	v_add_f16_e32 v35, v36, v53
	v_add_f16_e32 v36, v135, v50
	;; [unrolled: 1-line block ×4, first 2 shown]
	v_mul_f16_e32 v119, 0xb5ac, v75
	v_mul_f16_e32 v116, 0x3b15, v75
	v_mul_f16_e32 v75, 0x2fb7, v75
	v_add_f16_e32 v101, v112, v101
	v_add_f16_sdwa v93, v93, v13 dst_sel:DWORD dst_unused:UNUSED_PAD src0_sel:DWORD src1_sel:WORD_1
	v_add_f16_e32 v76, v76, v13
	v_add_f16_sdwa v77, v77, v13 dst_sel:DWORD dst_unused:UNUSED_PAD src0_sel:DWORD src1_sel:WORD_1
	v_add_f16_sdwa v48, v49, v13 dst_sel:DWORD dst_unused:UNUSED_PAD src0_sel:DWORD src1_sel:WORD_1
	v_sub_f16_e32 v49, v54, v132
	v_add_f16_e32 v13, v36, v13
	v_add_f16_e32 v36, v131, v51
	;; [unrolled: 1-line block ×4, first 2 shown]
	v_mul_f16_e32 v107, 0xb9fd, v80
	v_mul_f16_e32 v109, 0x388b, v80
	;; [unrolled: 1-line block ×3, first 2 shown]
	v_add_f16_e32 v83, v101, v99
	v_add_f16_e32 v75, v75, v98
	v_sub_f16_e32 v92, v92, v126
	v_add_f16_e32 v79, v130, v79
	v_sub_f16_e32 v78, v78, v124
	;; [unrolled: 2-line block ×3, first 2 shown]
	v_add_f16_e32 v13, v36, v13
	v_add_f16_e32 v36, v44, v43
	;; [unrolled: 1-line block ×6, first 2 shown]
	v_sub_f16_e32 v91, v96, v115
	v_add_f16_e32 v76, v79, v76
	v_add_f16_e32 v79, v127, v85
	;; [unrolled: 1-line block ×3, first 2 shown]
	v_sub_f16_e32 v78, v82, v129
	v_add_f16_e32 v32, v33, v47
	v_sub_f16_e32 v33, v61, v113
	v_add_f16_e32 v31, v117, v52
	v_add_f16_e32 v36, v36, v42
	;; [unrolled: 1-line block ×5, first 2 shown]
	v_sub_f16_e32 v83, v95, v140
	v_add_f16_e32 v76, v79, v76
	v_add_f16_e32 v79, v116, v88
	;; [unrolled: 1-line block ×3, first 2 shown]
	v_sub_f16_e32 v69, v81, v69
	v_add_f16_e32 v32, v33, v32
	v_sub_f16_e32 v33, v64, v65
	v_add_f16_e32 v13, v31, v13
	v_add_f16_e32 v30, v119, v55
	;; [unrolled: 1-line block ×4, first 2 shown]
	v_mul_f16_e32 v141, 0xbbc4, v89
	v_mul_f16_e32 v105, 0x3b15, v89
	;; [unrolled: 1-line block ×3, first 2 shown]
	v_add_f16_e32 v80, v83, v80
	v_sub_f16_e32 v83, v94, v133
	v_add_f16_e32 v76, v79, v76
	v_add_f16_e32 v78, v109, v87
	;; [unrolled: 1-line block ×3, first 2 shown]
	v_sub_f16_e32 v77, v86, v111
	v_add_f16_e32 v29, v33, v32
	v_add_f16_e32 v13, v30, v13
	;; [unrolled: 1-line block ×5, first 2 shown]
	v_lshrrev_b32_e32 v28, 1, v3
	v_mul_f16_e32 v138, 0x388b, v89
	v_mul_f16_e32 v89, 0xb5ac, v89
	v_add_f16_e32 v80, v83, v80
	v_sub_f16_e32 v83, v97, v110
	v_add_f16_e32 v76, v78, v76
	v_add_f16_e32 v78, v112, v90
	;; [unrolled: 1-line block ×3, first 2 shown]
	v_sub_f16_e32 v73, v73, v100
	v_add_f16_e32 v31, v105, v66
	v_sub_f16_e32 v33, v63, v72
	v_add_f16_e32 v13, v30, v13
	v_add_f16_e32 v30, v32, v39
	;; [unrolled: 1-line block ×3, first 2 shown]
	v_mul_u32_u24_e32 v27, 26, v28
	v_add_f16_e32 v28, v141, v60
	v_add_f16_e32 v89, v89, v106
	;; [unrolled: 1-line block ×6, first 2 shown]
	v_add_f16_sdwa v14, v30, v14 dst_sel:WORD_1 dst_unused:UNUSED_PAD src0_sel:DWORD src1_sel:DWORD
	v_add_f16_e32 v25, v25, v26
	v_or_b32_e32 v8, v27, v8
	v_add_f16_e32 v13, v28, v13
	v_add_f16_e32 v26, v31, v35
	;; [unrolled: 1-line block ×3, first 2 shown]
	v_or_b32_sdwa v14, v14, v25 dst_sel:DWORD dst_unused:UNUSED_PAD src0_sel:DWORD src1_sel:WORD_0
	v_lshl_add_u32 v8, v8, 2, 0
	v_pack_b32_f16 v13, v13, v29
	v_pack_b32_f16 v25, v26, v38
	;; [unrolled: 1-line block ×3, first 2 shown]
	v_add_f16_e32 v27, v84, v75
	v_add_f16_e32 v28, v89, v56
	;; [unrolled: 1-line block ×3, first 2 shown]
	ds_write2_b32 v8, v14, v13 offset1:2
	ds_write2_b32 v8, v25, v26 offset0:4 offset1:6
	v_perm_b32 v26, v16, v15, 0x5040100
	v_pack_b32_f16 v13, v27, v58
	v_pack_b32_f16 v14, v28, v62
	;; [unrolled: 1-line block ×3, first 2 shown]
	v_perm_b32 v27, v37, v34, 0x5040100
	v_perm_b32 v28, v20, v24, 0x5040100
	;; [unrolled: 1-line block ×5, first 2 shown]
	ds_write2_b32 v8, v13, v14 offset0:8 offset1:10
	ds_write2_b32 v8, v25, v26 offset0:12 offset1:14
	;; [unrolled: 1-line block ×4, first 2 shown]
	ds_write_b32 v8, v31 offset:96
.LBB0_19:
	s_or_b32 exec_lo, exec_lo, s4
	s_waitcnt lgkmcnt(0)
	s_barrier
	buffer_gl0_inv
	ds_read_b32 v25, v0
	ds_read_b32 v33, v0 offset:1144
	ds_read_b32 v32, v0 offset:2288
	;; [unrolled: 1-line block ×6, first 2 shown]
	v_cmp_gt_u32_e64 s1, 0x68, v3
	v_lshl_add_u32 v14, v7, 2, 0
                                        ; implicit-def: $vgpr13
                                        ; implicit-def: $vgpr8
	s_and_saveexec_b32 s4, s1
	s_cbranch_execz .LBB0_21
; %bb.20:
	ds_read_b32 v15, v14
	ds_read_b32 v17, v0 offset:4160
	ds_read_b32 v19, v0 offset:5304
	;; [unrolled: 1-line block ×5, first 2 shown]
	ds_read_u16 v20, v0 offset:3018
	ds_read_b32 v24, v0 offset:3016
	s_waitcnt lgkmcnt(7)
	v_lshrrev_b32_e32 v16, 16, v15
	s_waitcnt lgkmcnt(6)
	v_lshrrev_b32_e32 v23, 16, v17
	;; [unrolled: 2-line block ×6, first 2 shown]
.LBB0_21:
	s_or_b32 exec_lo, exec_lo, s4
	v_and_b32_e32 v26, 0xff, v3
	v_mov_b32_e32 v44, 0x2d8
	s_waitcnt lgkmcnt(5)
	v_lshrrev_b32_e32 v45, 16, v33
	s_waitcnt lgkmcnt(4)
	v_lshrrev_b32_e32 v46, 16, v32
	;; [unrolled: 2-line block ×3, first 2 shown]
	v_mul_lo_u16 v26, 0x4f, v26
	s_waitcnt lgkmcnt(1)
	v_lshrrev_b32_e32 v48, 16, v28
	s_waitcnt lgkmcnt(0)
	v_lshrrev_b32_e32 v49, 16, v31
	v_lshrrev_b16 v42, 11, v26
	v_mov_b32_e32 v26, 6
	v_mul_lo_u16 v27, v42, 26
	v_mul_u32_u24_sdwa v42, v42, v44 dst_sel:DWORD dst_unused:UNUSED_PAD src0_sel:WORD_0 src1_sel:DWORD
	v_lshrrev_b32_e32 v44, 16, v30
	v_sub_nc_u16 v43, v3, v27
	v_mul_u32_u24_sdwa v27, v43, v26 dst_sel:DWORD dst_unused:UNUSED_PAD src0_sel:BYTE_0 src1_sel:DWORD
	v_lshlrev_b32_e32 v27, 2, v27
	s_clause 0x1
	global_load_dwordx4 v[38:41], v27, s[12:13] offset:96
	global_load_dwordx2 v[35:36], v27, s[12:13] offset:112
	v_mov_b32_e32 v27, 2
	s_waitcnt vmcnt(0)
	s_barrier
	buffer_gl0_inv
	v_lshlrev_b32_sdwa v43, v27, v43 dst_sel:DWORD dst_unused:UNUSED_PAD src0_sel:DWORD src1_sel:BYTE_0
	v_add3_u32 v42, 0, v42, v43
	v_mul_f16_sdwa v43, v38, v45 dst_sel:DWORD dst_unused:UNUSED_PAD src0_sel:WORD_1 src1_sel:DWORD
	v_mul_f16_sdwa v50, v38, v33 dst_sel:DWORD dst_unused:UNUSED_PAD src0_sel:WORD_1 src1_sel:DWORD
	;; [unrolled: 1-line block ×12, first 2 shown]
	v_fmac_f16_e32 v43, v38, v33
	v_fma_f16 v33, v38, v45, -v50
	v_fmac_f16_e32 v51, v39, v32
	v_fma_f16 v32, v39, v46, -v52
	v_fmac_f16_e32 v55, v41, v29
	v_fmac_f16_e32 v59, v36, v31
	v_fma_f16 v29, v36, v49, -v60
	v_fmac_f16_e32 v57, v35, v28
	v_fma_f16 v28, v35, v48, -v58
	;; [unrolled: 2-line block ×3, first 2 shown]
	v_fma_f16 v31, v41, v47, -v56
	v_add_f16_e32 v35, v43, v59
	v_add_f16_e32 v36, v33, v29
	v_sub_f16_e32 v29, v33, v29
	v_add_f16_e32 v33, v51, v57
	v_add_f16_e32 v39, v32, v28
	v_sub_f16_e32 v38, v43, v59
	v_sub_f16_e32 v40, v51, v57
	v_sub_f16_e32 v28, v32, v28
	v_add_f16_e32 v32, v53, v55
	v_add_f16_e32 v41, v30, v31
	v_sub_f16_e32 v43, v55, v53
	v_sub_f16_e32 v30, v31, v30
	v_add_f16_e32 v31, v33, v35
	v_add_f16_e32 v44, v39, v36
	v_sub_f16_e32 v45, v33, v35
	v_sub_f16_e32 v35, v35, v32
	;; [unrolled: 1-line block ×3, first 2 shown]
	v_add_f16_e32 v47, v43, v40
	v_sub_f16_e32 v49, v43, v40
	v_add_f16_e32 v31, v32, v31
	v_add_f16_e32 v32, v41, v44
	v_sub_f16_e32 v46, v39, v36
	v_sub_f16_e32 v36, v36, v41
	;; [unrolled: 1-line block ×3, first 2 shown]
	v_add_f16_e32 v48, v30, v28
	v_sub_f16_e32 v50, v30, v28
	v_sub_f16_e32 v43, v38, v43
	;; [unrolled: 1-line block ×4, first 2 shown]
	v_add_f16_e32 v38, v47, v38
	v_mul_f16_e32 v35, 0x3a52, v35
	v_mul_f16_e32 v41, 0x2b26, v33
	;; [unrolled: 1-line block ×3, first 2 shown]
	v_add_f16_e32 v51, v31, v25
	v_add_f16_sdwa v25, v32, v25 dst_sel:DWORD dst_unused:UNUSED_PAD src0_sel:DWORD src1_sel:WORD_1
	v_sub_f16_e32 v30, v29, v30
	v_add_f16_e32 v29, v48, v29
	v_mul_f16_e32 v36, 0x3a52, v36
	v_mul_f16_e32 v44, 0x2b26, v39
	;; [unrolled: 1-line block ×5, first 2 shown]
	v_fmamk_f16 v33, v33, 0x2b26, v35
	v_fma_f16 v41, v45, 0x39e0, -v41
	v_fma_f16 v35, v45, 0xb9e0, -v35
	v_fmamk_f16 v45, v43, 0xb574, v47
	v_fma_f16 v40, v40, 0xbb00, -v47
	v_lshlrev_b32_e32 v47, 16, v25
	v_fmamk_f16 v39, v39, 0x2b26, v36
	v_fma_f16 v44, v46, 0x39e0, -v44
	v_fma_f16 v36, v46, 0xb9e0, -v36
	v_fmamk_f16 v46, v30, 0xb574, v48
	v_fma_f16 v28, v28, 0xbb00, -v48
	v_fma_f16 v30, v30, 0x3574, -v50
	v_fmac_f16_e32 v25, 0xbcab, v32
	v_or_b32_sdwa v32, v47, v51 dst_sel:DWORD dst_unused:UNUSED_PAD src0_sel:DWORD src1_sel:WORD_0
	v_fmac_f16_e32 v51, 0xbcab, v31
	v_fma_f16 v43, v43, 0x3574, -v49
	v_fmac_f16_e32 v45, 0xb70e, v38
	v_fmac_f16_e32 v46, 0xb70e, v29
	;; [unrolled: 1-line block ×5, first 2 shown]
	v_add_f16_e32 v29, v39, v25
	v_add_f16_e32 v31, v44, v25
	;; [unrolled: 1-line block ×3, first 2 shown]
	v_fmac_f16_e32 v43, 0xb70e, v38
	v_add_f16_e32 v25, v36, v25
	v_add_f16_e32 v36, v41, v51
	;; [unrolled: 1-line block ×3, first 2 shown]
	v_sub_f16_e32 v38, v29, v45
	v_add_f16_e32 v41, v40, v31
	v_sub_f16_e32 v31, v31, v40
	v_add_f16_e32 v40, v46, v33
	;; [unrolled: 2-line block ×3, first 2 shown]
	v_add_f16_e32 v43, v30, v35
	v_sub_f16_e32 v44, v36, v28
	v_add_f16_e32 v28, v28, v36
	v_sub_f16_e32 v30, v35, v30
	v_add_f16_e32 v29, v45, v29
	v_sub_f16_e32 v33, v33, v46
	v_pack_b32_f16 v35, v40, v38
	v_pack_b32_f16 v36, v43, v39
	;; [unrolled: 1-line block ×6, first 2 shown]
	ds_write2_b32 v42, v32, v35 offset1:26
	ds_write2_b32 v42, v36, v38 offset0:52 offset1:78
	ds_write2_b32 v42, v28, v25 offset0:104 offset1:130
	ds_write_b32 v42, v29 offset:624
	s_and_saveexec_b32 s4, s1
	s_cbranch_execz .LBB0_23
; %bb.22:
	v_mov_b32_e32 v25, 0x4ec5
	v_mul_u32_u24_sdwa v25, v7, v25 dst_sel:DWORD dst_unused:UNUSED_PAD src0_sel:WORD_0 src1_sel:DWORD
	v_lshrrev_b32_e32 v32, 19, v25
	v_mul_lo_u16 v25, v32, 26
	v_mul_lo_u16 v32, 0xb6, v32
	v_sub_nc_u16 v33, v7, v25
	v_lshlrev_b32_sdwa v32, v27, v32 dst_sel:DWORD dst_unused:UNUSED_PAD src0_sel:DWORD src1_sel:WORD_0
	v_mul_u32_u24_sdwa v25, v33, v26 dst_sel:DWORD dst_unused:UNUSED_PAD src0_sel:WORD_0 src1_sel:DWORD
	v_lshlrev_b32_sdwa v27, v27, v33 dst_sel:DWORD dst_unused:UNUSED_PAD src0_sel:DWORD src1_sel:WORD_0
	v_lshlrev_b32_e32 v25, 2, v25
	v_add3_u32 v27, 0, v27, v32
	s_clause 0x1
	global_load_dwordx4 v[28:31], v25, s[12:13] offset:96
	global_load_dwordx2 v[25:26], v25, s[12:13] offset:112
	s_waitcnt vmcnt(1)
	v_mul_f16_sdwa v32, v37, v28 dst_sel:DWORD dst_unused:UNUSED_PAD src0_sel:DWORD src1_sel:WORD_1
	s_waitcnt vmcnt(0)
	v_mul_f16_sdwa v33, v13, v26 dst_sel:DWORD dst_unused:UNUSED_PAD src0_sel:DWORD src1_sel:WORD_1
	v_mul_f16_sdwa v35, v22, v31 dst_sel:DWORD dst_unused:UNUSED_PAD src0_sel:DWORD src1_sel:WORD_1
	;; [unrolled: 1-line block ×11, first 2 shown]
	v_fmac_f16_e32 v32, v34, v28
	v_fmac_f16_e32 v33, v8, v26
	;; [unrolled: 1-line block ×5, first 2 shown]
	v_fma_f16 v8, v13, v26, -v40
	v_fma_f16 v13, v37, v28, -v41
	;; [unrolled: 1-line block ×4, first 2 shown]
	v_fmac_f16_e32 v36, v17, v30
	v_fma_f16 v17, v23, v30, -v42
	v_fma_f16 v18, v22, v31, -v43
	v_add_f16_e32 v24, v13, v8
	v_add_f16_e32 v26, v20, v19
	;; [unrolled: 1-line block ×4, first 2 shown]
	v_sub_f16_e32 v21, v32, v33
	v_sub_f16_e32 v22, v35, v36
	;; [unrolled: 1-line block ×3, first 2 shown]
	v_add_f16_e32 v25, v17, v18
	v_add_f16_e32 v29, v36, v35
	v_sub_f16_e32 v8, v13, v8
	v_sub_f16_e32 v13, v18, v17
	;; [unrolled: 1-line block ×3, first 2 shown]
	v_add_f16_e32 v32, v26, v24
	v_add_f16_e32 v35, v30, v28
	v_sub_f16_e32 v18, v21, v22
	v_sub_f16_e32 v19, v22, v23
	v_add_f16_e32 v20, v22, v23
	v_sub_f16_e32 v22, v24, v25
	v_sub_f16_e32 v31, v25, v26
	;; [unrolled: 1-line block ×6, first 2 shown]
	v_add_f16_e32 v13, v13, v17
	v_sub_f16_e32 v23, v23, v21
	v_sub_f16_e32 v17, v17, v8
	v_add_f16_e32 v25, v25, v32
	v_add_f16_e32 v29, v29, v35
	v_sub_f16_e32 v24, v26, v24
	v_sub_f16_e32 v26, v30, v28
	v_mul_f16_e32 v19, 0x3846, v19
	v_add_f16_e32 v20, v20, v21
	v_mul_f16_e32 v21, 0x3a52, v22
	v_mul_f16_e32 v22, 0x2b26, v31
	v_mul_f16_e32 v28, 0x3a52, v33
	v_mul_f16_e32 v32, 0x3846, v37
	v_add_f16_e32 v8, v13, v8
	v_mul_f16_e32 v13, 0xbb00, v23
	v_mul_f16_e32 v33, 0xbb00, v17
	v_add_f16_e32 v16, v16, v25
	v_add_f16_e32 v15, v15, v29
	v_mul_f16_e32 v30, 0x2b26, v34
	v_fmamk_f16 v35, v18, 0xb574, v19
	v_fmamk_f16 v31, v31, 0x2b26, v21
	;; [unrolled: 1-line block ×4, first 2 shown]
	v_fma_f16 v13, v18, 0x3574, -v13
	v_fma_f16 v18, v24, 0xb9e0, -v21
	;; [unrolled: 1-line block ×6, first 2 shown]
	v_fmamk_f16 v24, v25, 0xbcab, v16
	v_fmamk_f16 v25, v29, 0xbcab, v15
	v_fma_f16 v19, v23, 0xbb00, -v19
	v_fma_f16 v23, v26, 0x39e0, -v30
	v_fmac_f16_e32 v35, 0xb70e, v20
	v_fmac_f16_e32 v37, 0xb70e, v8
	;; [unrolled: 1-line block ×4, first 2 shown]
	v_pack_b32_f16 v8, v15, v16
	v_add_f16_e32 v15, v31, v24
	v_add_f16_e32 v16, v34, v25
	v_fmac_f16_e32 v13, 0xb70e, v20
	v_fmac_f16_e32 v19, 0xb70e, v20
	v_add_f16_e32 v18, v18, v24
	v_add_f16_e32 v20, v21, v25
	;; [unrolled: 1-line block ×5, first 2 shown]
	v_sub_f16_e32 v24, v16, v37
	v_sub_f16_e32 v15, v15, v35
	v_add_f16_e32 v16, v37, v16
	v_add_f16_e32 v25, v13, v18
	v_sub_f16_e32 v26, v21, v19
	v_add_f16_e32 v19, v19, v21
	v_sub_f16_e32 v13, v18, v13
	;; [unrolled: 2-line block ×4, first 2 shown]
	v_pack_b32_f16 v15, v16, v15
	v_pack_b32_f16 v13, v18, v13
	;; [unrolled: 1-line block ×6, first 2 shown]
	ds_write2_b32 v27, v8, v15 offset1:26
	ds_write2_b32 v27, v13, v16 offset0:52 offset1:78
	ds_write2_b32 v27, v17, v18 offset0:104 offset1:130
	ds_write_b32 v27, v19 offset:624
.LBB0_23:
	s_or_b32 exec_lo, exec_lo, s4
	v_mul_u32_u24_e32 v8, 10, v3
	s_waitcnt lgkmcnt(0)
	s_barrier
	buffer_gl0_inv
	v_add_nc_u32_e32 v13, 0x1600, v0
	v_lshlrev_b32_e32 v8, 2, v8
	v_lshl_add_u32 v17, v11, 2, 0
	v_lshl_add_u32 v16, v10, 2, 0
	;; [unrolled: 1-line block ×4, first 2 shown]
	s_clause 0x2
	global_load_dwordx4 v[20:23], v8, s[12:13] offset:720
	global_load_dwordx4 v[24:27], v8, s[12:13] offset:736
	global_load_dwordx2 v[28:29], v8, s[12:13] offset:752
	ds_read_b32 v34, v14
	v_add_nc_u32_e32 v8, 0x1000, v0
	v_add_nc_u32_e32 v40, 0x500, v0
	;; [unrolled: 1-line block ×3, first 2 shown]
	ds_read2_b32 v[30:31], v8 offset0:68 offset1:250
	ds_read2_b32 v[32:33], v13 offset0:48 offset1:230
	ds_read_b32 v35, v17
	ds_read_b32 v36, v16
	;; [unrolled: 1-line block ×3, first 2 shown]
	ds_read_b32 v38, v0 offset:7280
	ds_read_b32 v39, v18
	ds_read_b32 v19, v0
	s_waitcnt vmcnt(0) lgkmcnt(0)
	s_barrier
	buffer_gl0_inv
	s_add_u32 s4, s12, 0x1f40
	s_addc_u32 s5, s13, 0
	s_mov_b32 s6, exec_lo
	v_lshrrev_b32_e32 v43, 16, v30
	v_lshrrev_b32_e32 v42, 16, v34
	;; [unrolled: 1-line block ×10, first 2 shown]
	v_mul_f16_sdwa v52, v20, v42 dst_sel:DWORD dst_unused:UNUSED_PAD src0_sel:WORD_1 src1_sel:DWORD
	v_mul_f16_sdwa v53, v20, v34 dst_sel:DWORD dst_unused:UNUSED_PAD src0_sel:WORD_1 src1_sel:DWORD
	;; [unrolled: 1-line block ×4, first 2 shown]
	v_mul_f16_sdwa v62, v43, v25 dst_sel:DWORD dst_unused:UNUSED_PAD src0_sel:DWORD src1_sel:WORD_1
	v_mul_f16_sdwa v64, v44, v26 dst_sel:DWORD dst_unused:UNUSED_PAD src0_sel:DWORD src1_sel:WORD_1
	;; [unrolled: 1-line block ×4, first 2 shown]
	v_fmac_f16_e32 v52, v20, v34
	v_fma_f16 v20, v20, v42, -v53
	v_mul_f16_sdwa v70, v47, v29 dst_sel:DWORD dst_unused:UNUSED_PAD src0_sel:DWORD src1_sel:WORD_1
	v_mul_f16_sdwa v71, v38, v29 dst_sel:DWORD dst_unused:UNUSED_PAD src0_sel:DWORD src1_sel:WORD_1
	v_mul_f16_sdwa v56, v22, v49 dst_sel:DWORD dst_unused:UNUSED_PAD src0_sel:WORD_1 src1_sel:DWORD
	v_mul_f16_sdwa v57, v22, v35 dst_sel:DWORD dst_unused:UNUSED_PAD src0_sel:WORD_1 src1_sel:DWORD
	;; [unrolled: 1-line block ×3, first 2 shown]
	v_mul_f16_sdwa v63, v30, v25 dst_sel:DWORD dst_unused:UNUSED_PAD src0_sel:DWORD src1_sel:WORD_1
	v_mul_f16_sdwa v65, v31, v26 dst_sel:DWORD dst_unused:UNUSED_PAD src0_sel:DWORD src1_sel:WORD_1
	v_fmac_f16_e32 v54, v21, v39
	v_fma_f16 v21, v21, v48, -v55
	v_fmac_f16_e32 v62, v30, v25
	v_fmac_f16_e32 v64, v31, v26
	;; [unrolled: 1-line block ×3, first 2 shown]
	v_fma_f16 v28, v46, v28, -v69
	v_add_f16_e32 v30, v52, v19
	v_add_f16_sdwa v31, v20, v19 dst_sel:DWORD dst_unused:UNUSED_PAD src0_sel:DWORD src1_sel:WORD_1
	v_mul_f16_sdwa v59, v23, v36 dst_sel:DWORD dst_unused:UNUSED_PAD src0_sel:WORD_1 src1_sel:DWORD
	v_mul_f16_sdwa v60, v24, v51 dst_sel:DWORD dst_unused:UNUSED_PAD src0_sel:WORD_1 src1_sel:DWORD
	;; [unrolled: 1-line block ×3, first 2 shown]
	v_mul_f16_sdwa v66, v45, v27 dst_sel:DWORD dst_unused:UNUSED_PAD src0_sel:DWORD src1_sel:WORD_1
	v_mul_f16_sdwa v67, v32, v27 dst_sel:DWORD dst_unused:UNUSED_PAD src0_sel:DWORD src1_sel:WORD_1
	v_fmac_f16_e32 v70, v38, v29
	v_fma_f16 v29, v47, v29, -v71
	v_fmac_f16_e32 v56, v22, v35
	v_fma_f16 v22, v22, v49, -v57
	v_fmac_f16_e32 v58, v23, v36
	v_add_f16_e32 v36, v21, v28
	v_sub_f16_e32 v38, v21, v28
	v_add_f16_e32 v30, v30, v54
	v_add_f16_e32 v21, v31, v21
	v_fma_f16 v23, v23, v50, -v59
	v_fmac_f16_e32 v60, v24, v37
	v_fma_f16 v24, v24, v51, -v61
	v_fma_f16 v25, v43, v25, -v63
	;; [unrolled: 1-line block ×3, first 2 shown]
	v_fmac_f16_e32 v66, v32, v27
	v_fma_f16 v27, v45, v27, -v67
	v_add_f16_e32 v33, v20, v29
	v_sub_f16_e32 v20, v20, v29
	v_add_f16_e32 v30, v30, v56
	v_add_f16_e32 v21, v21, v22
	;; [unrolled: 1-line block ×3, first 2 shown]
	v_sub_f16_e32 v34, v52, v70
	v_add_f16_e32 v35, v54, v68
	v_sub_f16_e32 v37, v54, v68
	v_add_f16_e32 v42, v22, v27
	;; [unrolled: 2-line block ×4, first 2 shown]
	v_sub_f16_e32 v52, v24, v25
	v_mul_f16_e32 v31, 0xb853, v20
	v_mul_f16_e32 v53, 0x3abb, v33
	;; [unrolled: 1-line block ×10, first 2 shown]
	v_add_f16_e32 v30, v30, v58
	v_add_f16_e32 v21, v21, v23
	;; [unrolled: 1-line block ×3, first 2 shown]
	v_sub_f16_e32 v43, v56, v66
	v_add_f16_e32 v45, v58, v64
	v_sub_f16_e32 v47, v58, v64
	v_add_f16_e32 v49, v60, v62
	v_sub_f16_e32 v51, v60, v62
	v_mul_f16_e32 v65, 0xbb47, v38
	v_mul_f16_e32 v67, 0x36a6, v36
	;; [unrolled: 1-line block ×40, first 2 shown]
	v_fmamk_f16 v22, v32, 0x3abb, v31
	v_fmamk_f16 v56, v34, 0x3853, v53
	v_fma_f16 v31, v32, 0x3abb, -v31
	v_fmac_f16_e32 v53, 0xb853, v34
	v_fmamk_f16 v100, v32, 0x36a6, v54
	v_fmamk_f16 v101, v34, 0x3b47, v55
	v_fma_f16 v54, v32, 0x36a6, -v54
	v_fmac_f16_e32 v55, 0xbb47, v34
	;; [unrolled: 4-line block ×5, first 2 shown]
	v_add_f16_e32 v30, v30, v60
	v_add_f16_e32 v21, v21, v24
	v_fmamk_f16 v32, v35, 0x36a6, v65
	v_fmamk_f16 v34, v37, 0x3b47, v67
	v_fma_f16 v65, v35, 0x36a6, -v65
	v_fmac_f16_e32 v67, 0xbb47, v37
	v_fmamk_f16 v108, v35, 0xb93d, v69
	v_fmamk_f16 v109, v37, 0x3a0c, v71
	v_fma_f16 v69, v35, 0xb93d, -v69
	v_fmac_f16_e32 v71, 0xba0c, v37
	v_fmamk_f16 v110, v35, 0xbbad, v72
	v_fmamk_f16 v111, v37, 0xb482, v73
	v_fma_f16 v72, v35, 0xbbad, -v72
	v_fmac_f16_e32 v73, 0x3482, v37
	v_fmamk_f16 v112, v35, 0xb08e, v74
	v_fmamk_f16 v113, v37, 0xbbeb, v75
	v_fma_f16 v74, v35, 0xb08e, -v74
	v_fmac_f16_e32 v75, 0x3beb, v37
	v_fmamk_f16 v114, v35, 0x3abb, v38
	v_fmamk_f16 v115, v37, 0xb853, v36
	v_fma_f16 v35, v35, 0x3abb, -v38
	v_fmac_f16_e32 v36, 0x3853, v37
	v_fmamk_f16 v37, v39, 0xb08e, v76
	v_fmamk_f16 v38, v43, 0x3beb, v77
	v_fma_f16 v76, v39, 0xb08e, -v76
	v_fmac_f16_e32 v77, 0xbbeb, v43
	v_fmamk_f16 v116, v39, 0xbbad, v78
	v_fmamk_f16 v117, v43, 0xb482, v79
	v_fma_f16 v78, v39, 0xbbad, -v78
	v_fmac_f16_e32 v79, 0x3482, v43
	v_fmamk_f16 v118, v39, 0x36a6, v80
	v_fmamk_f16 v119, v43, 0xbb47, v81
	v_fma_f16 v80, v39, 0x36a6, -v80
	v_fmac_f16_e32 v81, 0x3b47, v43
	v_fmamk_f16 v120, v39, 0x3abb, v82
	v_fmamk_f16 v121, v43, 0x3853, v83
	v_fma_f16 v82, v39, 0x3abb, -v82
	v_fmac_f16_e32 v83, 0xb853, v43
	v_fmamk_f16 v122, v39, 0xb93d, v44
	v_fmamk_f16 v123, v43, 0x3a0c, v42
	v_fma_f16 v39, v39, 0xb93d, -v44
	v_fmac_f16_e32 v42, 0xba0c, v43
	v_fmamk_f16 v43, v45, 0xb93d, v84
	v_fmamk_f16 v44, v47, 0x3a0c, v85
	v_fma_f16 v84, v45, 0xb93d, -v84
	v_fmac_f16_e32 v85, 0xba0c, v47
	v_fmamk_f16 v124, v45, 0xb08e, v86
	v_fmamk_f16 v125, v47, 0xbbeb, v87
	v_fma_f16 v86, v45, 0xb08e, -v86
	v_fmac_f16_e32 v87, 0x3beb, v47
	v_fmamk_f16 v126, v45, 0x3abb, v88
	v_fmamk_f16 v127, v47, 0x3853, v89
	v_fma_f16 v88, v45, 0x3abb, -v88
	v_fmac_f16_e32 v89, 0xb853, v47
	v_fmamk_f16 v128, v45, 0xbbad, v90
	v_fmamk_f16 v129, v47, 0x3482, v91
	v_fma_f16 v90, v45, 0xbbad, -v90
	v_fmac_f16_e32 v91, 0xb482, v47
	v_fmamk_f16 v130, v45, 0x36a6, v48
	v_fmamk_f16 v131, v47, 0xbb47, v46
	v_fma_f16 v45, v45, 0x36a6, -v48
	v_fmac_f16_e32 v46, 0x3b47, v47
	v_fmamk_f16 v47, v49, 0xbbad, v92
	v_fmamk_f16 v48, v51, 0x3482, v93
	v_fma_f16 v92, v49, 0xbbad, -v92
	v_fmac_f16_e32 v93, 0xb482, v51
	v_fmamk_f16 v132, v49, 0x3abb, v94
	v_fmamk_f16 v133, v51, 0xb853, v95
	v_fma_f16 v94, v49, 0x3abb, -v94
	v_fmac_f16_e32 v95, 0x3853, v51
	v_fmamk_f16 v134, v49, 0xb93d, v96
	v_fmamk_f16 v135, v51, 0x3a0c, v97
	v_fma_f16 v96, v49, 0xb93d, -v96
	v_fmac_f16_e32 v97, 0xba0c, v51
	v_fmamk_f16 v136, v49, 0x36a6, v98
	v_fmamk_f16 v137, v51, 0xbb47, v99
	v_fma_f16 v98, v49, 0x36a6, -v98
	v_fmac_f16_e32 v99, 0x3b47, v51
	v_fmamk_f16 v138, v49, 0xb08e, v52
	v_fmamk_f16 v139, v51, 0x3beb, v50
	v_fma_f16 v49, v49, 0xb08e, -v52
	v_fmac_f16_e32 v50, 0xbbeb, v51
	v_add_f16_e32 v22, v22, v19
	v_add_f16_sdwa v23, v56, v19 dst_sel:DWORD dst_unused:UNUSED_PAD src0_sel:DWORD src1_sel:WORD_1
	v_add_f16_e32 v31, v31, v19
	v_add_f16_sdwa v51, v53, v19 dst_sel:DWORD dst_unused:UNUSED_PAD src0_sel:DWORD src1_sel:WORD_1
	;; [unrolled: 2-line block ×10, first 2 shown]
	v_add_f16_e32 v30, v30, v62
	v_add_f16_e32 v21, v21, v25
	;; [unrolled: 1-line block ×89, first 2 shown]
	v_add_f16_sdwa v21, v21, v29 dst_sel:WORD_1 dst_unused:UNUSED_PAD src0_sel:DWORD src1_sel:DWORD
	v_pack_b32_f16 v22, v22, v23
	v_pack_b32_f16 v23, v26, v27
	v_pack_b32_f16 v26, v33, v34
	v_pack_b32_f16 v27, v37, v38
	v_pack_b32_f16 v28, v43, v44
	v_pack_b32_f16 v19, v20, v19
	v_pack_b32_f16 v20, v39, v42
	v_pack_b32_f16 v29, v35, v36
	v_pack_b32_f16 v31, v31, v32
	v_pack_b32_f16 v24, v24, v25
	v_or_b32_sdwa v21, v21, v30 dst_sel:DWORD dst_unused:UNUSED_PAD src0_sel:DWORD src1_sel:WORD_0
	ds_write2_b32 v40, v23, v26 offset0:44 offset1:226
	ds_write2_b32 v41, v27, v28 offset0:24 offset1:206
	;; [unrolled: 1-line block ×4, first 2 shown]
	ds_write_b32 v0, v24 offset:7280
	ds_write2_b32 v0, v21, v22 offset1:182
	s_waitcnt lgkmcnt(0)
	s_barrier
	buffer_gl0_inv
	ds_read_b32 v8, v0
	v_sub_nc_u32_e32 v19, 0, v4
                                        ; implicit-def: $vgpr21
                                        ; implicit-def: $vgpr20
                                        ; implicit-def: $vgpr4
	v_cmpx_ne_u32_e32 0, v3
	s_xor_b32 s6, exec_lo, s6
	s_cbranch_execz .LBB0_25
; %bb.24:
	v_mov_b32_e32 v4, 0
	v_lshlrev_b64 v[20:21], 2, v[3:4]
	ds_read_b32 v4, v19 offset:8008
	v_add_co_u32 v20, s1, s4, v20
	v_add_co_ci_u32_e64 v21, s1, s5, v21, s1
	global_load_dword v13, v[20:21], off
	s_waitcnt lgkmcnt(0)
	v_sub_f16_e32 v20, v8, v4
	v_add_f16_sdwa v21, v4, v8 dst_sel:DWORD dst_unused:UNUSED_PAD src0_sel:WORD_1 src1_sel:WORD_1
	v_sub_f16_sdwa v22, v8, v4 dst_sel:DWORD dst_unused:UNUSED_PAD src0_sel:WORD_1 src1_sel:WORD_1
	v_add_f16_e32 v4, v4, v8
	v_mul_f16_e32 v23, 0.5, v20
	v_mul_f16_e32 v8, 0.5, v21
	;; [unrolled: 1-line block ×3, first 2 shown]
	s_waitcnt vmcnt(0)
	v_lshrrev_b32_e32 v20, 16, v13
	v_mul_f16_e32 v22, v20, v23
	v_fma_f16 v24, v8, v20, v21
	v_fma_f16 v21, v8, v20, -v21
	v_fma_f16 v25, 0.5, v4, v22
	v_fma_f16 v22, v4, 0.5, -v22
	v_fma_f16 v4, -v13, v23, v24
	v_fma_f16 v21, -v13, v23, v21
	v_fmac_f16_e32 v25, v13, v8
	v_fma_f16 v20, -v13, v8, v22
                                        ; implicit-def: $vgpr8
	ds_write_b16 v0, v25
.LBB0_25:
	s_andn2_saveexec_b32 s1, s6
	s_cbranch_execz .LBB0_27
; %bb.26:
	v_mov_b32_e32 v4, 0
	s_waitcnt lgkmcnt(0)
	v_add_f16_sdwa v22, v8, v8 dst_sel:DWORD dst_unused:UNUSED_PAD src0_sel:WORD_1 src1_sel:DWORD
	v_sub_f16_sdwa v20, v8, v8 dst_sel:DWORD dst_unused:UNUSED_PAD src0_sel:DWORD src1_sel:WORD_1
	v_mov_b32_e32 v21, 0
	ds_read_u16 v13, v4 offset:4006
	s_waitcnt lgkmcnt(0)
	v_xor_b32_e32 v8, 0x8000, v13
	ds_write_b16 v0, v22
	ds_write_b16 v4, v8 offset:4006
.LBB0_27:
	s_or_b32 exec_lo, exec_lo, s1
	s_waitcnt lgkmcnt(0)
	v_mov_b32_e32 v8, 0
	ds_write_b16 v0, v4 offset:2
	ds_read_b32 v0, v19 offset:7280
	v_lshlrev_b64 v[22:23], 2, v[7:8]
	v_mov_b32_e32 v13, v8
	v_lshlrev_b64 v[12:13], 2, v[12:13]
	v_add_co_u32 v22, s1, s4, v22
	v_add_co_ci_u32_e64 v23, s1, s5, v23, s1
	v_add_co_u32 v12, s1, s4, v12
	global_load_dword v7, v[22:23], off
	v_add_co_ci_u32_e64 v13, s1, s5, v13, s1
	global_load_dword v13, v[12:13], off
	v_mov_b32_e32 v12, v8
	v_lshlrev_b64 v[11:12], 2, v[11:12]
	v_add_co_u32 v11, s1, s4, v11
	v_add_co_ci_u32_e64 v12, s1, s5, v12, s1
	global_load_dword v12, v[11:12], off
	v_mov_b32_e32 v11, v8
	v_lshlrev_b64 v[10:11], 2, v[10:11]
	v_add_co_u32 v10, s1, s4, v10
	v_add_co_ci_u32_e64 v11, s1, s5, v11, s1
	global_load_dword v10, v[10:11], off
	v_perm_b32 v11, v21, v20, 0x5040100
	ds_write_b32 v19, v11 offset:8008
	ds_read_b32 v4, v14
	s_waitcnt lgkmcnt(0)
	v_pk_add_f16 v11, v4, v0 neg_lo:[0,1] neg_hi:[0,1]
	v_pk_add_f16 v0, v4, v0
	v_bfi_b32 v4, 0xffff, v11, v0
	v_bfi_b32 v0, 0xffff, v0, v11
	v_pk_mul_f16 v4, v4, 0.5 op_sel_hi:[1,0]
	v_pk_mul_f16 v0, v0, 0.5 op_sel_hi:[1,0]
	s_waitcnt vmcnt(3)
	v_pk_fma_f16 v11, v7, v4, v0 op_sel:[1,0,0]
	v_pk_mul_f16 v20, v7, v4 op_sel_hi:[0,1]
	v_pk_fma_f16 v21, v7, v4, v0 op_sel:[1,0,0] neg_lo:[1,0,0] neg_hi:[1,0,0]
	v_pk_fma_f16 v0, v7, v4, v0 op_sel:[1,0,0] neg_lo:[0,0,1] neg_hi:[0,0,1]
	v_pk_add_f16 v4, v11, v20 op_sel:[0,1] op_sel_hi:[1,0]
	v_pk_add_f16 v7, v11, v20 op_sel:[0,1] op_sel_hi:[1,0] neg_lo:[0,1] neg_hi:[0,1]
	v_pk_add_f16 v11, v21, v20 op_sel:[0,1] op_sel_hi:[1,0] neg_lo:[0,1] neg_hi:[0,1]
	v_pk_add_f16 v0, v0, v20 op_sel:[0,1] op_sel_hi:[1,0] neg_lo:[0,1] neg_hi:[0,1]
	v_bfi_b32 v4, 0xffff, v4, v7
	v_bfi_b32 v0, 0xffff, v11, v0
	ds_write_b32 v14, v4
	ds_write_b32 v19, v0 offset:7280
	ds_read_b32 v0, v18
	ds_read_b32 v4, v19 offset:6552
	s_waitcnt lgkmcnt(0)
	v_pk_add_f16 v7, v0, v4 neg_lo:[0,1] neg_hi:[0,1]
	v_pk_add_f16 v0, v0, v4
	v_bfi_b32 v4, 0xffff, v7, v0
	v_bfi_b32 v0, 0xffff, v0, v7
	v_pk_mul_f16 v4, v4, 0.5 op_sel_hi:[1,0]
	v_pk_mul_f16 v0, v0, 0.5 op_sel_hi:[1,0]
	s_waitcnt vmcnt(2)
	v_pk_mul_f16 v11, v13, v4 op_sel_hi:[0,1]
	v_pk_fma_f16 v7, v13, v4, v0 op_sel:[1,0,0]
	v_pk_fma_f16 v14, v13, v4, v0 op_sel:[1,0,0] neg_lo:[1,0,0] neg_hi:[1,0,0]
	v_pk_fma_f16 v0, v13, v4, v0 op_sel:[1,0,0] neg_lo:[0,0,1] neg_hi:[0,0,1]
	v_pk_add_f16 v4, v7, v11 op_sel:[0,1] op_sel_hi:[1,0]
	v_pk_add_f16 v7, v7, v11 op_sel:[0,1] op_sel_hi:[1,0] neg_lo:[0,1] neg_hi:[0,1]
	v_pk_add_f16 v13, v14, v11 op_sel:[0,1] op_sel_hi:[1,0] neg_lo:[0,1] neg_hi:[0,1]
	v_pk_add_f16 v0, v0, v11 op_sel:[0,1] op_sel_hi:[1,0] neg_lo:[0,1] neg_hi:[0,1]
	v_bfi_b32 v4, 0xffff, v4, v7
	v_bfi_b32 v0, 0xffff, v13, v0
	ds_write_b32 v18, v4
	ds_write_b32 v19, v0 offset:6552
	ds_read_b32 v0, v17
	ds_read_b32 v4, v19 offset:5824
	s_waitcnt lgkmcnt(0)
	v_pk_add_f16 v7, v0, v4 neg_lo:[0,1] neg_hi:[0,1]
	v_pk_add_f16 v0, v0, v4
	v_bfi_b32 v4, 0xffff, v7, v0
	v_bfi_b32 v0, 0xffff, v0, v7
	v_pk_mul_f16 v4, v4, 0.5 op_sel_hi:[1,0]
	v_pk_mul_f16 v0, v0, 0.5 op_sel_hi:[1,0]
	s_waitcnt vmcnt(1)
	v_pk_mul_f16 v11, v12, v4 op_sel_hi:[0,1]
	v_pk_fma_f16 v7, v12, v4, v0 op_sel:[1,0,0]
	;; [unrolled: 22-line block ×3, first 2 shown]
	v_pk_fma_f16 v12, v10, v4, v0 op_sel:[1,0,0] neg_lo:[1,0,0] neg_hi:[1,0,0]
	v_pk_fma_f16 v0, v10, v4, v0 op_sel:[1,0,0] neg_lo:[0,0,1] neg_hi:[0,0,1]
	v_pk_add_f16 v4, v7, v11 op_sel:[0,1] op_sel_hi:[1,0]
	v_pk_add_f16 v7, v7, v11 op_sel:[0,1] op_sel_hi:[1,0] neg_lo:[0,1] neg_hi:[0,1]
	v_pk_add_f16 v10, v12, v11 op_sel:[0,1] op_sel_hi:[1,0] neg_lo:[0,1] neg_hi:[0,1]
	;; [unrolled: 1-line block ×3, first 2 shown]
	v_bfi_b32 v4, 0xffff, v4, v7
	v_bfi_b32 v0, 0xffff, v10, v0
	ds_write_b32 v16, v4
	ds_write_b32 v19, v0 offset:5096
	s_and_saveexec_b32 s1, s0
	s_cbranch_execz .LBB0_29
; %bb.28:
	v_mov_b32_e32 v10, v8
	v_lshlrev_b64 v[7:8], 2, v[9:10]
	v_add_co_u32 v7, s0, s4, v7
	v_add_co_ci_u32_e64 v8, s0, s5, v8, s0
	global_load_dword v0, v[7:8], off
	ds_read_b32 v4, v15
	ds_read_b32 v7, v19 offset:4368
	s_waitcnt lgkmcnt(0)
	v_pk_add_f16 v8, v4, v7 neg_lo:[0,1] neg_hi:[0,1]
	v_pk_add_f16 v4, v4, v7
	v_bfi_b32 v7, 0xffff, v8, v4
	v_bfi_b32 v4, 0xffff, v4, v8
	v_pk_mul_f16 v7, v7, 0.5 op_sel_hi:[1,0]
	v_pk_mul_f16 v4, v4, 0.5 op_sel_hi:[1,0]
	s_waitcnt vmcnt(0)
	v_pk_fma_f16 v8, v0, v7, v4 op_sel:[1,0,0]
	v_pk_mul_f16 v9, v0, v7 op_sel_hi:[0,1]
	v_pk_fma_f16 v10, v0, v7, v4 op_sel:[1,0,0] neg_lo:[1,0,0] neg_hi:[1,0,0]
	v_pk_fma_f16 v0, v0, v7, v4 op_sel:[1,0,0] neg_lo:[0,0,1] neg_hi:[0,0,1]
	v_pk_add_f16 v4, v8, v9 op_sel:[0,1] op_sel_hi:[1,0]
	v_pk_add_f16 v7, v8, v9 op_sel:[0,1] op_sel_hi:[1,0] neg_lo:[0,1] neg_hi:[0,1]
	v_pk_add_f16 v8, v10, v9 op_sel:[0,1] op_sel_hi:[1,0] neg_lo:[0,1] neg_hi:[0,1]
	;; [unrolled: 1-line block ×3, first 2 shown]
	v_bfi_b32 v4, 0xffff, v4, v7
	v_bfi_b32 v0, 0xffff, v8, v0
	ds_write_b32 v15, v4
	ds_write_b32 v19, v0 offset:4368
.LBB0_29:
	s_or_b32 exec_lo, exec_lo, s1
	s_waitcnt lgkmcnt(0)
	s_barrier
	buffer_gl0_inv
	s_and_saveexec_b32 s0, vcc_lo
	s_cbranch_execz .LBB0_32
; %bb.30:
	v_mul_lo_u32 v0, s3, v5
	v_mul_lo_u32 v7, s2, v6
	v_mad_u64_u32 v[5:6], null, s2, v5, 0
	v_lshl_add_u32 v21, v3, 2, 0
	v_mov_b32_e32 v4, 0
	v_add_nc_u32_e32 v9, 0x16c, v3
	v_add_nc_u32_e32 v19, 0x4fa, v3
	ds_read2_b32 v[11:12], v21 offset1:182
	v_add3_u32 v6, v6, v7, v0
	v_lshlrev_b64 v[0:1], 2, v[1:2]
	v_add_nc_u32_e32 v2, 0x500, v21
	v_add_nc_u32_e32 v7, 0xb6, v3
	v_mov_b32_e32 v8, v4
	v_lshlrev_b64 v[5:6], 2, v[5:6]
	v_lshlrev_b64 v[13:14], 2, v[3:4]
	v_mov_b32_e32 v10, v4
	v_mov_b32_e32 v20, v4
	v_lshlrev_b64 v[7:8], 2, v[7:8]
	v_add_co_u32 v15, vcc_lo, s10, v5
	v_add_co_ci_u32_e32 v16, vcc_lo, s11, v6, vcc_lo
	ds_read2_b32 v[5:6], v2 offset0:44 offset1:226
	v_add_co_u32 v0, vcc_lo, v15, v0
	v_add_co_ci_u32_e32 v1, vcc_lo, v16, v1, vcc_lo
	v_lshlrev_b64 v[9:10], 2, v[9:10]
	v_add_co_u32 v13, vcc_lo, v0, v13
	v_add_co_ci_u32_e32 v14, vcc_lo, v1, v14, vcc_lo
	v_add_co_u32 v7, vcc_lo, v0, v7
	v_add_co_ci_u32_e32 v8, vcc_lo, v1, v8, vcc_lo
	;; [unrolled: 2-line block ×3, first 2 shown]
	v_add_nc_u32_e32 v15, 0x222, v3
	v_mov_b32_e32 v16, v4
	v_add_nc_u32_e32 v2, 0xb00, v21
	s_waitcnt lgkmcnt(1)
	global_store_dword v[13:14], v11, off
	global_store_dword v[7:8], v12, off
	s_waitcnt lgkmcnt(0)
	global_store_dword v[9:10], v5, off
	v_add_nc_u32_e32 v5, 0x1000, v21
	v_add_nc_u32_e32 v9, 0x2d8, v3
	v_mov_b32_e32 v10, v4
	v_lshlrev_b64 v[7:8], 2, v[15:16]
	ds_read2_b32 v[13:14], v2 offset0:24 offset1:206
	v_add_nc_u32_e32 v11, 0x38e, v3
	v_mov_b32_e32 v12, v4
	ds_read2_b32 v[17:18], v5 offset0:68 offset1:250
	v_lshlrev_b64 v[9:10], 2, v[9:10]
	v_add_nc_u32_e32 v15, 0x444, v3
	v_add_co_u32 v7, vcc_lo, v0, v7
	v_lshlrev_b64 v[11:12], 2, v[11:12]
	v_add_co_ci_u32_e32 v8, vcc_lo, v1, v8, vcc_lo
	v_add_co_u32 v9, vcc_lo, v0, v9
	v_lshlrev_b64 v[15:16], 2, v[15:16]
	v_add_co_ci_u32_e32 v10, vcc_lo, v1, v10, vcc_lo
	v_add_co_u32 v11, vcc_lo, v0, v11
	v_add_co_ci_u32_e32 v12, vcc_lo, v1, v12, vcc_lo
	v_add_co_u32 v15, vcc_lo, v0, v15
	v_add_co_ci_u32_e32 v16, vcc_lo, v1, v16, vcc_lo
	global_store_dword v[7:8], v6, off
	s_waitcnt lgkmcnt(1)
	global_store_dword v[9:10], v13, off
	global_store_dword v[11:12], v14, off
	s_waitcnt lgkmcnt(0)
	global_store_dword v[15:16], v17, off
	v_add_nc_u32_e32 v7, 0x5b0, v3
	v_mov_b32_e32 v8, v4
	v_add_nc_u32_e32 v2, 0x1600, v21
	v_lshlrev_b64 v[5:6], 2, v[19:20]
	v_add_nc_u32_e32 v9, 0x666, v3
	v_mov_b32_e32 v10, v4
	v_lshlrev_b64 v[7:8], 2, v[7:8]
	ds_read2_b32 v[11:12], v2 offset0:48 offset1:230
	v_add_nc_u32_e32 v13, 0x71c, v3
	v_mov_b32_e32 v14, v4
	v_add_co_u32 v5, vcc_lo, v0, v5
	v_lshlrev_b64 v[9:10], 2, v[9:10]
	ds_read_b32 v2, v21 offset:7280
	v_add_co_ci_u32_e32 v6, vcc_lo, v1, v6, vcc_lo
	v_add_co_u32 v7, vcc_lo, v0, v7
	v_lshlrev_b64 v[13:14], 2, v[13:14]
	v_add_co_ci_u32_e32 v8, vcc_lo, v1, v8, vcc_lo
	v_add_co_u32 v9, vcc_lo, v0, v9
	v_add_co_ci_u32_e32 v10, vcc_lo, v1, v10, vcc_lo
	v_add_co_u32 v13, vcc_lo, v0, v13
	v_add_co_ci_u32_e32 v14, vcc_lo, v1, v14, vcc_lo
	v_cmp_eq_u32_e32 vcc_lo, 0xb5, v3
	global_store_dword v[5:6], v18, off
	s_waitcnt lgkmcnt(1)
	global_store_dword v[7:8], v11, off
	global_store_dword v[9:10], v12, off
	s_waitcnt lgkmcnt(0)
	global_store_dword v[13:14], v2, off
	s_and_b32 exec_lo, exec_lo, vcc_lo
	s_cbranch_execz .LBB0_32
; %bb.31:
	ds_read_b32 v2, v4 offset:8008
	v_add_co_u32 v0, vcc_lo, 0x1800, v0
	v_add_co_ci_u32_e32 v1, vcc_lo, 0, v1, vcc_lo
	s_waitcnt lgkmcnt(0)
	global_store_dword v[0:1], v2, off offset:1864
.LBB0_32:
	s_endpgm
	.section	.rodata,"a",@progbits
	.p2align	6, 0x0
	.amdhsa_kernel fft_rtc_back_len2002_factors_2_13_7_11_wgs_182_tpt_182_halfLds_half_op_CI_CI_unitstride_sbrr_R2C_dirReg
		.amdhsa_group_segment_fixed_size 0
		.amdhsa_private_segment_fixed_size 0
		.amdhsa_kernarg_size 104
		.amdhsa_user_sgpr_count 6
		.amdhsa_user_sgpr_private_segment_buffer 1
		.amdhsa_user_sgpr_dispatch_ptr 0
		.amdhsa_user_sgpr_queue_ptr 0
		.amdhsa_user_sgpr_kernarg_segment_ptr 1
		.amdhsa_user_sgpr_dispatch_id 0
		.amdhsa_user_sgpr_flat_scratch_init 0
		.amdhsa_user_sgpr_private_segment_size 0
		.amdhsa_wavefront_size32 1
		.amdhsa_uses_dynamic_stack 0
		.amdhsa_system_sgpr_private_segment_wavefront_offset 0
		.amdhsa_system_sgpr_workgroup_id_x 1
		.amdhsa_system_sgpr_workgroup_id_y 0
		.amdhsa_system_sgpr_workgroup_id_z 0
		.amdhsa_system_sgpr_workgroup_info 0
		.amdhsa_system_vgpr_workitem_id 0
		.amdhsa_next_free_vgpr 155
		.amdhsa_next_free_sgpr 27
		.amdhsa_reserve_vcc 1
		.amdhsa_reserve_flat_scratch 0
		.amdhsa_float_round_mode_32 0
		.amdhsa_float_round_mode_16_64 0
		.amdhsa_float_denorm_mode_32 3
		.amdhsa_float_denorm_mode_16_64 3
		.amdhsa_dx10_clamp 1
		.amdhsa_ieee_mode 1
		.amdhsa_fp16_overflow 0
		.amdhsa_workgroup_processor_mode 1
		.amdhsa_memory_ordered 1
		.amdhsa_forward_progress 0
		.amdhsa_shared_vgpr_count 0
		.amdhsa_exception_fp_ieee_invalid_op 0
		.amdhsa_exception_fp_denorm_src 0
		.amdhsa_exception_fp_ieee_div_zero 0
		.amdhsa_exception_fp_ieee_overflow 0
		.amdhsa_exception_fp_ieee_underflow 0
		.amdhsa_exception_fp_ieee_inexact 0
		.amdhsa_exception_int_div_zero 0
	.end_amdhsa_kernel
	.text
.Lfunc_end0:
	.size	fft_rtc_back_len2002_factors_2_13_7_11_wgs_182_tpt_182_halfLds_half_op_CI_CI_unitstride_sbrr_R2C_dirReg, .Lfunc_end0-fft_rtc_back_len2002_factors_2_13_7_11_wgs_182_tpt_182_halfLds_half_op_CI_CI_unitstride_sbrr_R2C_dirReg
                                        ; -- End function
	.section	.AMDGPU.csdata,"",@progbits
; Kernel info:
; codeLenInByte = 12528
; NumSgprs: 29
; NumVgprs: 155
; ScratchSize: 0
; MemoryBound: 0
; FloatMode: 240
; IeeeMode: 1
; LDSByteSize: 0 bytes/workgroup (compile time only)
; SGPRBlocks: 3
; VGPRBlocks: 19
; NumSGPRsForWavesPerEU: 29
; NumVGPRsForWavesPerEU: 155
; Occupancy: 6
; WaveLimiterHint : 1
; COMPUTE_PGM_RSRC2:SCRATCH_EN: 0
; COMPUTE_PGM_RSRC2:USER_SGPR: 6
; COMPUTE_PGM_RSRC2:TRAP_HANDLER: 0
; COMPUTE_PGM_RSRC2:TGID_X_EN: 1
; COMPUTE_PGM_RSRC2:TGID_Y_EN: 0
; COMPUTE_PGM_RSRC2:TGID_Z_EN: 0
; COMPUTE_PGM_RSRC2:TIDIG_COMP_CNT: 0
	.text
	.p2alignl 6, 3214868480
	.fill 48, 4, 3214868480
	.type	__hip_cuid_5ca0c93b87064d14,@object ; @__hip_cuid_5ca0c93b87064d14
	.section	.bss,"aw",@nobits
	.globl	__hip_cuid_5ca0c93b87064d14
__hip_cuid_5ca0c93b87064d14:
	.byte	0                               ; 0x0
	.size	__hip_cuid_5ca0c93b87064d14, 1

	.ident	"AMD clang version 19.0.0git (https://github.com/RadeonOpenCompute/llvm-project roc-6.4.0 25133 c7fe45cf4b819c5991fe208aaa96edf142730f1d)"
	.section	".note.GNU-stack","",@progbits
	.addrsig
	.addrsig_sym __hip_cuid_5ca0c93b87064d14
	.amdgpu_metadata
---
amdhsa.kernels:
  - .args:
      - .actual_access:  read_only
        .address_space:  global
        .offset:         0
        .size:           8
        .value_kind:     global_buffer
      - .offset:         8
        .size:           8
        .value_kind:     by_value
      - .actual_access:  read_only
        .address_space:  global
        .offset:         16
        .size:           8
        .value_kind:     global_buffer
      - .actual_access:  read_only
        .address_space:  global
        .offset:         24
        .size:           8
        .value_kind:     global_buffer
      - .actual_access:  read_only
        .address_space:  global
        .offset:         32
        .size:           8
        .value_kind:     global_buffer
      - .offset:         40
        .size:           8
        .value_kind:     by_value
      - .actual_access:  read_only
        .address_space:  global
        .offset:         48
        .size:           8
        .value_kind:     global_buffer
      - .actual_access:  read_only
        .address_space:  global
        .offset:         56
        .size:           8
        .value_kind:     global_buffer
      - .offset:         64
        .size:           4
        .value_kind:     by_value
      - .actual_access:  read_only
        .address_space:  global
        .offset:         72
        .size:           8
        .value_kind:     global_buffer
      - .actual_access:  read_only
        .address_space:  global
        .offset:         80
        .size:           8
        .value_kind:     global_buffer
      - .actual_access:  read_only
        .address_space:  global
        .offset:         88
        .size:           8
        .value_kind:     global_buffer
      - .actual_access:  write_only
        .address_space:  global
        .offset:         96
        .size:           8
        .value_kind:     global_buffer
    .group_segment_fixed_size: 0
    .kernarg_segment_align: 8
    .kernarg_segment_size: 104
    .language:       OpenCL C
    .language_version:
      - 2
      - 0
    .max_flat_workgroup_size: 182
    .name:           fft_rtc_back_len2002_factors_2_13_7_11_wgs_182_tpt_182_halfLds_half_op_CI_CI_unitstride_sbrr_R2C_dirReg
    .private_segment_fixed_size: 0
    .sgpr_count:     29
    .sgpr_spill_count: 0
    .symbol:         fft_rtc_back_len2002_factors_2_13_7_11_wgs_182_tpt_182_halfLds_half_op_CI_CI_unitstride_sbrr_R2C_dirReg.kd
    .uniform_work_group_size: 1
    .uses_dynamic_stack: false
    .vgpr_count:     155
    .vgpr_spill_count: 0
    .wavefront_size: 32
    .workgroup_processor_mode: 1
amdhsa.target:   amdgcn-amd-amdhsa--gfx1030
amdhsa.version:
  - 1
  - 2
...

	.end_amdgpu_metadata
